;; amdgpu-corpus repo=ROCm/rocFFT kind=compiled arch=gfx906 opt=O3
	.text
	.amdgcn_target "amdgcn-amd-amdhsa--gfx906"
	.amdhsa_code_object_version 6
	.protected	fft_rtc_back_len816_factors_17_2_3_2_2_2_wgs_51_tpt_51_halfLds_sp_ip_CI_unitstride_sbrr_R2C_dirReg ; -- Begin function fft_rtc_back_len816_factors_17_2_3_2_2_2_wgs_51_tpt_51_halfLds_sp_ip_CI_unitstride_sbrr_R2C_dirReg
	.globl	fft_rtc_back_len816_factors_17_2_3_2_2_2_wgs_51_tpt_51_halfLds_sp_ip_CI_unitstride_sbrr_R2C_dirReg
	.p2align	8
	.type	fft_rtc_back_len816_factors_17_2_3_2_2_2_wgs_51_tpt_51_halfLds_sp_ip_CI_unitstride_sbrr_R2C_dirReg,@function
fft_rtc_back_len816_factors_17_2_3_2_2_2_wgs_51_tpt_51_halfLds_sp_ip_CI_unitstride_sbrr_R2C_dirReg: ; @fft_rtc_back_len816_factors_17_2_3_2_2_2_wgs_51_tpt_51_halfLds_sp_ip_CI_unitstride_sbrr_R2C_dirReg
; %bb.0:
	s_load_dwordx2 s[12:13], s[4:5], 0x50
	s_load_dwordx4 s[8:11], s[4:5], 0x0
	s_load_dwordx2 s[2:3], s[4:5], 0x18
	v_mul_u32_u24_e32 v1, 0x506, v0
	v_add_u32_sdwa v5, s6, v1 dst_sel:DWORD dst_unused:UNUSED_PAD src0_sel:DWORD src1_sel:WORD_1
	v_mov_b32_e32 v3, 0
	s_waitcnt lgkmcnt(0)
	v_cmp_lt_u64_e64 s[0:1], s[10:11], 2
	v_mov_b32_e32 v1, 0
	v_mov_b32_e32 v6, v3
	s_and_b64 vcc, exec, s[0:1]
	v_mov_b32_e32 v2, 0
	s_cbranch_vccnz .LBB0_8
; %bb.1:
	s_load_dwordx2 s[0:1], s[4:5], 0x10
	s_add_u32 s6, s2, 8
	s_addc_u32 s7, s3, 0
	v_mov_b32_e32 v1, 0
	v_mov_b32_e32 v2, 0
	s_waitcnt lgkmcnt(0)
	s_add_u32 s14, s0, 8
	s_addc_u32 s15, s1, 0
	s_mov_b64 s[16:17], 1
.LBB0_2:                                ; =>This Inner Loop Header: Depth=1
	s_load_dwordx2 s[18:19], s[14:15], 0x0
                                        ; implicit-def: $vgpr7_vgpr8
	s_waitcnt lgkmcnt(0)
	v_or_b32_e32 v4, s19, v6
	v_cmp_ne_u64_e32 vcc, 0, v[3:4]
	s_and_saveexec_b64 s[0:1], vcc
	s_xor_b64 s[20:21], exec, s[0:1]
	s_cbranch_execz .LBB0_4
; %bb.3:                                ;   in Loop: Header=BB0_2 Depth=1
	v_cvt_f32_u32_e32 v4, s18
	v_cvt_f32_u32_e32 v7, s19
	s_sub_u32 s0, 0, s18
	s_subb_u32 s1, 0, s19
	v_mac_f32_e32 v4, 0x4f800000, v7
	v_rcp_f32_e32 v4, v4
	v_mul_f32_e32 v4, 0x5f7ffffc, v4
	v_mul_f32_e32 v7, 0x2f800000, v4
	v_trunc_f32_e32 v7, v7
	v_mac_f32_e32 v4, 0xcf800000, v7
	v_cvt_u32_f32_e32 v7, v7
	v_cvt_u32_f32_e32 v4, v4
	v_mul_lo_u32 v8, s0, v7
	v_mul_hi_u32 v9, s0, v4
	v_mul_lo_u32 v11, s1, v4
	v_mul_lo_u32 v10, s0, v4
	v_add_u32_e32 v8, v9, v8
	v_add_u32_e32 v8, v8, v11
	v_mul_hi_u32 v9, v4, v10
	v_mul_lo_u32 v11, v4, v8
	v_mul_hi_u32 v13, v4, v8
	v_mul_hi_u32 v12, v7, v10
	v_mul_lo_u32 v10, v7, v10
	v_mul_hi_u32 v14, v7, v8
	v_add_co_u32_e32 v9, vcc, v9, v11
	v_addc_co_u32_e32 v11, vcc, 0, v13, vcc
	v_mul_lo_u32 v8, v7, v8
	v_add_co_u32_e32 v9, vcc, v9, v10
	v_addc_co_u32_e32 v9, vcc, v11, v12, vcc
	v_addc_co_u32_e32 v10, vcc, 0, v14, vcc
	v_add_co_u32_e32 v8, vcc, v9, v8
	v_addc_co_u32_e32 v9, vcc, 0, v10, vcc
	v_add_co_u32_e32 v4, vcc, v4, v8
	v_addc_co_u32_e32 v7, vcc, v7, v9, vcc
	v_mul_lo_u32 v8, s0, v7
	v_mul_hi_u32 v9, s0, v4
	v_mul_lo_u32 v10, s1, v4
	v_mul_lo_u32 v11, s0, v4
	v_add_u32_e32 v8, v9, v8
	v_add_u32_e32 v8, v8, v10
	v_mul_lo_u32 v12, v4, v8
	v_mul_hi_u32 v13, v4, v11
	v_mul_hi_u32 v14, v4, v8
	;; [unrolled: 1-line block ×3, first 2 shown]
	v_mul_lo_u32 v11, v7, v11
	v_mul_hi_u32 v9, v7, v8
	v_add_co_u32_e32 v12, vcc, v13, v12
	v_addc_co_u32_e32 v13, vcc, 0, v14, vcc
	v_mul_lo_u32 v8, v7, v8
	v_add_co_u32_e32 v11, vcc, v12, v11
	v_addc_co_u32_e32 v10, vcc, v13, v10, vcc
	v_addc_co_u32_e32 v9, vcc, 0, v9, vcc
	v_add_co_u32_e32 v8, vcc, v10, v8
	v_addc_co_u32_e32 v9, vcc, 0, v9, vcc
	v_add_co_u32_e32 v4, vcc, v4, v8
	v_addc_co_u32_e32 v9, vcc, v7, v9, vcc
	v_mad_u64_u32 v[7:8], s[0:1], v5, v9, 0
	v_mul_hi_u32 v10, v5, v4
	v_add_co_u32_e32 v11, vcc, v10, v7
	v_addc_co_u32_e32 v12, vcc, 0, v8, vcc
	v_mad_u64_u32 v[7:8], s[0:1], v6, v4, 0
	v_mad_u64_u32 v[9:10], s[0:1], v6, v9, 0
	v_add_co_u32_e32 v4, vcc, v11, v7
	v_addc_co_u32_e32 v4, vcc, v12, v8, vcc
	v_addc_co_u32_e32 v7, vcc, 0, v10, vcc
	v_add_co_u32_e32 v4, vcc, v4, v9
	v_addc_co_u32_e32 v9, vcc, 0, v7, vcc
	v_mul_lo_u32 v10, s19, v4
	v_mul_lo_u32 v11, s18, v9
	v_mad_u64_u32 v[7:8], s[0:1], s18, v4, 0
	v_add3_u32 v8, v8, v11, v10
	v_sub_u32_e32 v10, v6, v8
	v_mov_b32_e32 v11, s19
	v_sub_co_u32_e32 v7, vcc, v5, v7
	v_subb_co_u32_e64 v10, s[0:1], v10, v11, vcc
	v_subrev_co_u32_e64 v11, s[0:1], s18, v7
	v_subbrev_co_u32_e64 v10, s[0:1], 0, v10, s[0:1]
	v_cmp_le_u32_e64 s[0:1], s19, v10
	v_cndmask_b32_e64 v12, 0, -1, s[0:1]
	v_cmp_le_u32_e64 s[0:1], s18, v11
	v_cndmask_b32_e64 v11, 0, -1, s[0:1]
	v_cmp_eq_u32_e64 s[0:1], s19, v10
	v_cndmask_b32_e64 v10, v12, v11, s[0:1]
	v_add_co_u32_e64 v11, s[0:1], 2, v4
	v_addc_co_u32_e64 v12, s[0:1], 0, v9, s[0:1]
	v_add_co_u32_e64 v13, s[0:1], 1, v4
	v_addc_co_u32_e64 v14, s[0:1], 0, v9, s[0:1]
	v_subb_co_u32_e32 v8, vcc, v6, v8, vcc
	v_cmp_ne_u32_e64 s[0:1], 0, v10
	v_cmp_le_u32_e32 vcc, s19, v8
	v_cndmask_b32_e64 v10, v14, v12, s[0:1]
	v_cndmask_b32_e64 v12, 0, -1, vcc
	v_cmp_le_u32_e32 vcc, s18, v7
	v_cndmask_b32_e64 v7, 0, -1, vcc
	v_cmp_eq_u32_e32 vcc, s19, v8
	v_cndmask_b32_e32 v7, v12, v7, vcc
	v_cmp_ne_u32_e32 vcc, 0, v7
	v_cndmask_b32_e64 v7, v13, v11, s[0:1]
	v_cndmask_b32_e32 v8, v9, v10, vcc
	v_cndmask_b32_e32 v7, v4, v7, vcc
.LBB0_4:                                ;   in Loop: Header=BB0_2 Depth=1
	s_andn2_saveexec_b64 s[0:1], s[20:21]
	s_cbranch_execz .LBB0_6
; %bb.5:                                ;   in Loop: Header=BB0_2 Depth=1
	v_cvt_f32_u32_e32 v4, s18
	s_sub_i32 s20, 0, s18
	v_rcp_iflag_f32_e32 v4, v4
	v_mul_f32_e32 v4, 0x4f7ffffe, v4
	v_cvt_u32_f32_e32 v4, v4
	v_mul_lo_u32 v7, s20, v4
	v_mul_hi_u32 v7, v4, v7
	v_add_u32_e32 v4, v4, v7
	v_mul_hi_u32 v4, v5, v4
	v_mul_lo_u32 v7, v4, s18
	v_add_u32_e32 v8, 1, v4
	v_sub_u32_e32 v7, v5, v7
	v_subrev_u32_e32 v9, s18, v7
	v_cmp_le_u32_e32 vcc, s18, v7
	v_cndmask_b32_e32 v7, v7, v9, vcc
	v_cndmask_b32_e32 v4, v4, v8, vcc
	v_add_u32_e32 v8, 1, v4
	v_cmp_le_u32_e32 vcc, s18, v7
	v_cndmask_b32_e32 v7, v4, v8, vcc
	v_mov_b32_e32 v8, v3
.LBB0_6:                                ;   in Loop: Header=BB0_2 Depth=1
	s_or_b64 exec, exec, s[0:1]
	v_mul_lo_u32 v4, v8, s18
	v_mul_lo_u32 v11, v7, s19
	v_mad_u64_u32 v[9:10], s[0:1], v7, s18, 0
	s_load_dwordx2 s[0:1], s[6:7], 0x0
	s_add_u32 s16, s16, 1
	v_add3_u32 v4, v10, v11, v4
	v_sub_co_u32_e32 v5, vcc, v5, v9
	v_subb_co_u32_e32 v4, vcc, v6, v4, vcc
	s_waitcnt lgkmcnt(0)
	v_mul_lo_u32 v4, s0, v4
	v_mul_lo_u32 v6, s1, v5
	v_mad_u64_u32 v[1:2], s[0:1], s0, v5, v[1:2]
	s_addc_u32 s17, s17, 0
	s_add_u32 s6, s6, 8
	v_add3_u32 v2, v6, v2, v4
	v_mov_b32_e32 v4, s10
	v_mov_b32_e32 v5, s11
	s_addc_u32 s7, s7, 0
	v_cmp_ge_u64_e32 vcc, s[16:17], v[4:5]
	s_add_u32 s14, s14, 8
	s_addc_u32 s15, s15, 0
	s_cbranch_vccnz .LBB0_9
; %bb.7:                                ;   in Loop: Header=BB0_2 Depth=1
	v_mov_b32_e32 v5, v7
	v_mov_b32_e32 v6, v8
	s_branch .LBB0_2
.LBB0_8:
	v_mov_b32_e32 v8, v6
	v_mov_b32_e32 v7, v5
.LBB0_9:
	s_lshl_b64 s[0:1], s[10:11], 3
	s_add_u32 s0, s2, s0
	s_addc_u32 s1, s3, s1
	s_load_dwordx2 s[2:3], s[0:1], 0x0
	s_load_dwordx2 s[6:7], s[4:5], 0x20
	s_waitcnt lgkmcnt(0)
	v_mad_u64_u32 v[1:2], s[0:1], s2, v7, v[1:2]
	s_mov_b32 s0, 0x5050506
	v_mul_lo_u32 v3, s2, v8
	v_mul_lo_u32 v4, s3, v7
	v_mul_hi_u32 v5, v0, s0
	v_cmp_gt_u64_e64 s[0:1], s[6:7], v[7:8]
	v_add3_u32 v2, v4, v2, v3
	v_mul_u32_u24_e32 v3, 51, v5
	v_sub_u32_e32 v32, v0, v3
	v_lshlrev_b64 v[34:35], 3, v[1:2]
	v_lshl_add_u32 v42, v32, 3, 0
	s_and_saveexec_b64 s[2:3], s[0:1]
	s_cbranch_execz .LBB0_11
; %bb.10:
	v_mov_b32_e32 v33, 0
	v_mov_b32_e32 v0, s13
	v_add_co_u32_e32 v2, vcc, s12, v34
	v_addc_co_u32_e32 v3, vcc, v0, v35, vcc
	v_lshlrev_b64 v[0:1], 3, v[32:33]
	v_add_co_u32_e32 v0, vcc, v2, v0
	v_addc_co_u32_e32 v1, vcc, v3, v1, vcc
	v_add_co_u32_e32 v18, vcc, 0x1000, v0
	global_load_dwordx2 v[2:3], v[0:1], off
	global_load_dwordx2 v[4:5], v[0:1], off offset:408
	global_load_dwordx2 v[6:7], v[0:1], off offset:816
	;; [unrolled: 1-line block ×7, first 2 shown]
	v_addc_co_u32_e32 v19, vcc, 0, v1, vcc
	global_load_dwordx2 v[20:21], v[0:1], off offset:3264
	global_load_dwordx2 v[22:23], v[0:1], off offset:3672
	;; [unrolled: 1-line block ×8, first 2 shown]
	v_add_u32_e32 v0, 0x800, v42
	v_add_u32_e32 v1, 0xc00, v42
	;; [unrolled: 1-line block ×3, first 2 shown]
	s_waitcnt vmcnt(14)
	ds_write2_b64 v42, v[2:3], v[4:5] offset1:51
	s_waitcnt vmcnt(12)
	ds_write2_b64 v42, v[6:7], v[8:9] offset0:102 offset1:153
	s_waitcnt vmcnt(10)
	ds_write2_b64 v42, v[10:11], v[12:13] offset0:204 offset1:255
	;; [unrolled: 2-line block ×7, first 2 shown]
.LBB0_11:
	s_or_b64 exec, exec, s[2:3]
	v_add_u32_e32 v33, 0x1000, v42
	s_waitcnt lgkmcnt(0)
	; wave barrier
	s_waitcnt lgkmcnt(0)
	ds_read2_b64 v[0:3], v42 offset1:48
	ds_read_b64 v[40:41], v42 offset:6144
	ds_read2_b64 v[16:19], v42 offset0:96 offset1:144
	ds_read2_b64 v[4:7], v33 offset0:160 offset1:208
	s_mov_b32 s4, 0x3f6eb680
	s_mov_b32 s5, 0x3f3d2fb0
	s_waitcnt lgkmcnt(2)
	v_sub_f32_e32 v67, v3, v41
	v_add_f32_e32 v45, v40, v2
	v_mul_f32_e32 v61, 0xbeb8f4ab, v67
	s_waitcnt lgkmcnt(0)
	v_sub_f32_e32 v70, v17, v7
	v_fma_f32 v8, v45, s4, -v61
	v_add_f32_e32 v46, v6, v16
	v_mul_f32_e32 v62, 0xbf2c7751, v70
	v_add_f32_e32 v76, v41, v3
	v_add_f32_e32 v8, v0, v8
	v_fma_f32 v9, v46, s5, -v62
	v_mul_f32_e32 v64, 0x3f6eb680, v76
	v_add_f32_e32 v78, v7, v17
	v_add_f32_e32 v8, v9, v8
	v_sub_f32_e32 v48, v2, v40
	v_mov_b32_e32 v9, v64
	v_mul_f32_e32 v65, 0x3f3d2fb0, v78
	v_fmac_f32_e32 v9, 0xbeb8f4ab, v48
	v_sub_f32_e32 v49, v16, v6
	v_mov_b32_e32 v10, v65
	v_sub_f32_e32 v73, v19, v5
	v_add_f32_e32 v9, v1, v9
	v_fmac_f32_e32 v10, 0xbf2c7751, v49
	s_mov_b32 s6, 0x3ee437d1
	v_add_f32_e32 v47, v4, v18
	v_mul_f32_e32 v63, 0xbf65296c, v73
	v_add_f32_e32 v12, v10, v9
	v_fma_f32 v9, v47, s6, -v63
	v_add_f32_e32 v13, v9, v8
	ds_read2_b64 v[20:23], v42 offset0:192 offset1:240
	ds_read2_b64 v[8:11], v33 offset0:64 offset1:112
	v_add_f32_e32 v82, v5, v19
	v_mul_f32_e32 v68, 0x3ee437d1, v82
	v_sub_f32_e32 v51, v18, v4
	v_mov_b32_e32 v14, v68
	s_waitcnt lgkmcnt(0)
	v_sub_f32_e32 v77, v21, v11
	v_fmac_f32_e32 v14, 0xbf65296c, v51
	s_mov_b32 s7, 0x3dbcf732
	v_add_f32_e32 v50, v10, v20
	v_mul_f32_e32 v66, 0xbf7ee86f, v77
	v_add_f32_e32 v84, v11, v21
	v_add_f32_e32 v12, v14, v12
	v_fma_f32 v14, v50, s7, -v66
	v_mul_f32_e32 v71, 0x3dbcf732, v84
	v_add_f32_e32 v13, v14, v13
	v_sub_f32_e32 v53, v20, v10
	v_mov_b32_e32 v14, v71
	v_sub_f32_e32 v80, v23, v9
	v_fmac_f32_e32 v14, 0xbf7ee86f, v53
	s_mov_b32 s10, 0xbe8c1d8e
	v_add_f32_e32 v52, v8, v22
	v_mul_f32_e32 v69, 0xbf763a35, v80
	v_add_f32_e32 v28, v14, v12
	v_fma_f32 v12, v52, s10, -v69
	v_add_u32_e32 v43, 0x800, v42
	v_add_f32_e32 v29, v12, v13
	v_add_u32_e32 v44, 0xc00, v42
	ds_read2_b64 v[24:27], v43 offset0:32 offset1:80
	ds_read2_b64 v[12:15], v44 offset0:96 offset1:144
	v_add_f32_e32 v90, v9, v23
	v_mul_f32_e32 v74, 0xbe8c1d8e, v90
	v_sub_f32_e32 v55, v22, v8
	v_mov_b32_e32 v30, v74
	s_waitcnt lgkmcnt(0)
	v_sub_f32_e32 v85, v25, v15
	v_fmac_f32_e32 v30, 0xbf763a35, v55
	s_mov_b32 s11, 0xbf1a4643
	v_add_f32_e32 v54, v14, v24
	v_mul_f32_e32 v72, 0xbf4c4adb, v85
	v_add_f32_e32 v107, v15, v25
	v_add_f32_e32 v28, v30, v28
	v_fma_f32 v30, v54, s11, -v72
	v_mul_f32_e32 v79, 0xbf1a4643, v107
	v_add_f32_e32 v29, v30, v29
	v_sub_f32_e32 v57, v24, v14
	v_mov_b32_e32 v30, v79
	v_sub_f32_e32 v92, v27, v13
	v_fmac_f32_e32 v30, 0xbf4c4adb, v57
	s_mov_b32 s14, 0xbf59a7d5
	v_add_f32_e32 v56, v12, v26
	v_mul_f32_e32 v75, 0xbf06c442, v92
	v_add_f32_e32 v36, v30, v28
	v_fma_f32 v28, v56, s14, -v75
	v_add_f32_e32 v37, v28, v29
	ds_read2_b64 v[28:31], v43 offset0:128 offset1:176
	v_add_f32_e32 v116, v13, v27
	v_mul_f32_e32 v83, 0xbf59a7d5, v116
	v_sub_f32_e32 v59, v26, v12
	v_mov_b32_e32 v38, v83
	s_waitcnt lgkmcnt(0)
	v_sub_f32_e32 v101, v29, v31
	v_fmac_f32_e32 v38, 0xbf06c442, v59
	s_mov_b32 s15, 0xbf7ba420
	v_add_f32_e32 v58, v30, v28
	v_mul_f32_e32 v81, 0xbe3c28d5, v101
	v_add_f32_e32 v111, v31, v29
	v_add_f32_e32 v38, v38, v36
	v_fma_f32 v36, v58, s15, -v81
	v_mul_f32_e32 v87, 0xbf7ba420, v111
	v_add_f32_e32 v36, v36, v37
	v_sub_f32_e32 v60, v28, v30
	v_mov_b32_e32 v37, v87
	v_fmac_f32_e32 v37, 0xbe3c28d5, v60
	v_add_f32_e32 v37, v37, v38
	v_cmp_gt_u32_e32 vcc, 48, v32
	s_waitcnt lgkmcnt(0)
	; wave barrier
	s_and_saveexec_b64 s[2:3], vcc
	s_cbranch_execz .LBB0_13
; %bb.12:
	v_mul_f32_e32 v88, 0xbf7ba420, v76
	v_mov_b32_e32 v38, v88
	v_mul_f32_e32 v89, 0x3f6eb680, v78
	v_fmac_f32_e32 v38, 0x3e3c28d5, v48
	v_mov_b32_e32 v39, v89
	v_add_f32_e32 v38, v1, v38
	v_fmac_f32_e32 v39, 0xbeb8f4ab, v49
	v_mul_f32_e32 v91, 0xbf59a7d5, v82
	v_add_f32_e32 v38, v39, v38
	v_mov_b32_e32 v39, v91
	v_fmac_f32_e32 v39, 0x3f06c442, v51
	v_mul_f32_e32 v93, 0x3f3d2fb0, v84
	v_add_f32_e32 v38, v39, v38
	v_mov_b32_e32 v39, v93
	;; [unrolled: 4-line block ×7, first 2 shown]
	v_mul_f32_e32 v98, 0x3eb8f4ab, v70
	v_fmac_f32_e32 v38, 0xbf7ba420, v45
	v_mov_b32_e32 v99, v98
	v_add_f32_e32 v38, v0, v38
	v_fmac_f32_e32 v99, 0x3f6eb680, v46
	v_add_f32_e32 v38, v99, v38
	v_mul_f32_e32 v99, 0xbf06c442, v73
	v_mov_b32_e32 v100, v99
	v_fmac_f32_e32 v100, 0xbf59a7d5, v47
	v_add_f32_e32 v38, v100, v38
	v_mul_f32_e32 v100, 0x3f2c7751, v77
	v_mov_b32_e32 v102, v100
	;; [unrolled: 4-line block ×13, first 2 shown]
	v_fmac_f32_e32 v117, 0xbf2c7751, v59
	v_add_f32_e32 v117, v117, v115
	v_mul_f32_e32 v115, 0xbf06c442, v67
	v_add_f32_e32 v3, v1, v3
	v_add_f32_e32 v2, v0, v2
	v_mov_b32_e32 v118, v115
	v_add_f32_e32 v3, v3, v17
	v_add_f32_e32 v2, v2, v16
	v_mul_f32_e32 v17, 0x3f65296c, v70
	v_fmac_f32_e32 v118, 0xbf59a7d5, v45
	v_add_f32_e32 v2, v2, v18
	v_mov_b32_e32 v16, v17
	v_mul_f32_e32 v18, 0xbf7ee86f, v73
	v_add_f32_e32 v118, v0, v118
	v_add_f32_e32 v3, v3, v19
	v_fmac_f32_e32 v16, 0x3ee437d1, v46
	v_mov_b32_e32 v19, v18
	v_add_f32_e32 v16, v16, v118
	v_fmac_f32_e32 v19, 0x3dbcf732, v47
	v_add_f32_e32 v16, v19, v16
	v_mul_f32_e32 v19, 0x3f4c4adb, v77
	v_mov_b32_e32 v118, v19
	v_add_f32_e32 v2, v2, v20
	v_mul_f32_e32 v20, 0xbeb8f4ab, v80
	v_fmac_f32_e32 v118, 0xbf1a4643, v50
	v_add_f32_e32 v3, v3, v21
	v_add_f32_e32 v120, v2, v22
	v_mov_b32_e32 v2, v20
	v_mul_f32_e32 v21, 0xbe3c28d5, v85
	v_add_f32_e32 v118, v118, v16
	v_add_f32_e32 v119, v3, v23
	v_fmac_f32_e32 v2, 0x3f6eb680, v52
	v_mov_b32_e32 v3, v21
	v_add_f32_e32 v2, v2, v118
	v_fmac_f32_e32 v3, 0xbf7ba420, v54
	v_mul_f32_e32 v22, 0x3f2c7751, v92
	v_add_f32_e32 v2, v3, v2
	v_mov_b32_e32 v3, v22
	v_mul_f32_e32 v16, 0xbe8c1d8e, v111
	v_fmac_f32_e32 v3, 0x3f3d2fb0, v56
	v_add_f32_e32 v2, v3, v2
	v_mov_b32_e32 v3, v16
	v_fmac_f32_e32 v3, 0x3f763a35, v60
	v_mul_f32_e32 v23, 0xbf763a35, v101
	v_add_f32_e32 v3, v3, v117
	v_mov_b32_e32 v117, v23
	v_fmac_f32_e32 v117, 0xbe8c1d8e, v58
	v_add_f32_e32 v24, v120, v24
	v_add_f32_e32 v2, v117, v2
	v_add_f32_e32 v25, v119, v25
	v_add_f32_e32 v117, v24, v26
	v_mul_f32_e32 v24, 0xbf1a4643, v76
	v_add_f32_e32 v27, v25, v27
	v_mov_b32_e32 v25, v24
	v_fmac_f32_e32 v25, 0x3f4c4adb, v48
	v_add_f32_e32 v26, v1, v25
	v_mul_f32_e32 v25, 0xbe8c1d8e, v78
	v_mov_b32_e32 v118, v25
	v_fmac_f32_e32 v118, 0xbf763a35, v49
	v_add_f32_e32 v27, v27, v29
	v_add_f32_e32 v118, v118, v26
	v_mul_f32_e32 v26, 0x3f6eb680, v82
	v_add_f32_e32 v31, v27, v31
	v_add_f32_e32 v27, v117, v28
	v_mov_b32_e32 v119, v26
	v_add_f32_e32 v117, v27, v30
	v_mul_f32_e32 v27, 0xbf59a7d5, v84
	v_fmac_f32_e32 v119, 0x3eb8f4ab, v51
	v_mov_b32_e32 v28, v27
	v_add_f32_e32 v118, v119, v118
	v_fmac_f32_e32 v28, 0x3f06c442, v53
	v_add_f32_e32 v29, v28, v118
	v_mul_f32_e32 v28, 0x3dbcf732, v90
	v_mov_b32_e32 v30, v28
	v_fmac_f32_e32 v30, 0xbf7ee86f, v55
	v_add_f32_e32 v13, v31, v13
	v_add_f32_e32 v12, v117, v12
	v_mul_f32_e32 v31, 0xbf4c4adb, v67
	v_add_f32_e32 v30, v30, v29
	v_mul_f32_e32 v29, 0x3f3d2fb0, v107
	v_add_f32_e32 v12, v12, v14
	v_mov_b32_e32 v14, v31
	v_mul_f32_e32 v117, 0x3f763a35, v70
	v_mov_b32_e32 v118, v29
	v_add_f32_e32 v13, v13, v15
	v_fmac_f32_e32 v14, 0xbf1a4643, v45
	v_mov_b32_e32 v15, v117
	v_add_f32_e32 v8, v12, v8
	v_mul_f32_e32 v120, 0xbeb8f4ab, v73
	v_fmac_f32_e32 v118, 0x3f2c7751, v57
	v_add_f32_e32 v14, v0, v14
	v_fmac_f32_e32 v15, 0xbe8c1d8e, v46
	v_add_f32_e32 v9, v13, v9
	v_add_f32_e32 v10, v8, v10
	v_mov_b32_e32 v8, v120
	v_mul_f32_e32 v121, 0xbf06c442, v77
	v_add_f32_e32 v118, v118, v30
	v_mul_f32_e32 v30, 0xbf7ba420, v116
	v_add_f32_e32 v14, v15, v14
	v_add_f32_e32 v9, v9, v11
	v_fmac_f32_e32 v8, 0x3f6eb680, v47
	v_mov_b32_e32 v11, v121
	v_mov_b32_e32 v119, v30
	v_add_f32_e32 v8, v8, v14
	v_fmac_f32_e32 v11, 0xbf59a7d5, v50
	v_mul_f32_e32 v122, 0x3f7ee86f, v80
	v_fmac_f32_e32 v119, 0x3e3c28d5, v59
	v_add_f32_e32 v8, v11, v8
	v_mov_b32_e32 v11, v122
	v_add_f32_e32 v118, v119, v118
	v_mul_f32_e32 v119, 0x3ee437d1, v111
	v_fmac_f32_e32 v11, 0x3dbcf732, v52
	v_add_f32_e32 v11, v11, v8
	v_mov_b32_e32 v8, v119
	v_add_f32_e32 v4, v10, v4
	v_fmac_f32_e32 v8, 0xbf65296c, v60
	v_add_f32_e32 v5, v9, v5
	v_add_f32_e32 v4, v4, v6
	v_mul_f32_e32 v6, 0xbf2c7751, v85
	v_add_f32_e32 v8, v8, v118
	v_add_f32_e32 v5, v5, v7
	v_mov_b32_e32 v7, v6
	v_mul_f32_e32 v118, 0xbe3c28d5, v92
	v_fmac_f32_e32 v7, 0x3f3d2fb0, v54
	v_mov_b32_e32 v9, v118
	v_add_f32_e32 v7, v7, v11
	v_fmac_f32_e32 v9, 0xbf7ba420, v56
	v_mul_f32_e32 v123, 0x3f65296c, v101
	v_add_f32_e32 v7, v9, v7
	v_mov_b32_e32 v9, v123
	v_fmac_f32_e32 v9, 0x3ee437d1, v58
	v_mul_f32_e32 v124, 0xbe8c1d8e, v76
	v_add_f32_e32 v7, v9, v7
	v_mov_b32_e32 v9, v124
	v_mul_f32_e32 v125, 0xbf59a7d5, v78
	v_fmac_f32_e32 v9, 0x3f763a35, v48
	v_mov_b32_e32 v10, v125
	v_add_f32_e32 v9, v1, v9
	v_fmac_f32_e32 v10, 0xbf06c442, v49
	v_mul_f32_e32 v126, 0x3f3d2fb0, v82
	v_add_f32_e32 v9, v10, v9
	v_mov_b32_e32 v10, v126
	v_fmac_f32_e32 v10, 0xbf2c7751, v51
	v_mul_f32_e32 v127, 0x3ee437d1, v84
	v_add_f32_e32 v9, v10, v9
	v_mov_b32_e32 v10, v127
	v_fmac_f32_e32 v10, 0x3f65296c, v53
	v_mul_f32_e32 v128, 0xbf7ba420, v90
	v_add_f32_e32 v9, v10, v9
	v_mov_b32_e32 v10, v128
	v_fmac_f32_e32 v10, 0x3e3c28d5, v55
	v_mul_f32_e32 v129, 0x3dbcf732, v107
	v_add_f32_e32 v9, v10, v9
	v_mov_b32_e32 v10, v129
	v_fmac_f32_e32 v10, 0xbf7ee86f, v57
	v_mul_f32_e32 v130, 0x3f6eb680, v116
	v_add_f32_e32 v9, v10, v9
	v_mov_b32_e32 v10, v130
	v_fmac_f32_e32 v10, 0x3eb8f4ab, v59
	v_mul_f32_e32 v131, 0xbf763a35, v67
	v_add_f32_e32 v9, v10, v9
	v_mov_b32_e32 v10, v131
	v_mul_f32_e32 v132, 0x3f06c442, v70
	v_fmac_f32_e32 v10, 0xbe8c1d8e, v45
	v_mov_b32_e32 v11, v132
	v_add_f32_e32 v10, v0, v10
	v_fmac_f32_e32 v11, 0xbf59a7d5, v46
	v_mul_f32_e32 v133, 0x3f2c7751, v73
	v_add_f32_e32 v10, v11, v10
	v_mov_b32_e32 v11, v133
	v_fmac_f32_e32 v11, 0x3f3d2fb0, v47
	v_mul_f32_e32 v134, 0xbf65296c, v77
	v_add_f32_e32 v10, v11, v10
	v_mov_b32_e32 v11, v134
	v_fmac_f32_e32 v11, 0x3ee437d1, v50
	v_mul_f32_e32 v135, 0xbe3c28d5, v80
	v_add_f32_e32 v10, v11, v10
	v_mov_b32_e32 v11, v135
	v_fmac_f32_e32 v11, 0xbf7ba420, v52
	v_mul_f32_e32 v136, 0x3f7ee86f, v85
	v_add_f32_e32 v10, v11, v10
	v_mov_b32_e32 v11, v136
	v_fmac_f32_e32 v11, 0x3dbcf732, v54
	v_mul_f32_e32 v137, 0xbeb8f4ab, v92
	v_add_f32_e32 v10, v11, v10
	v_mov_b32_e32 v11, v137
	v_fmac_f32_e32 v11, 0x3f6eb680, v56
	v_mul_f32_e32 v138, 0xbf1a4643, v111
	v_add_f32_e32 v11, v11, v10
	v_mov_b32_e32 v10, v138
	v_fmac_f32_e32 v10, 0x3f4c4adb, v60
	v_mul_f32_e32 v139, 0xbf4c4adb, v101
	v_add_f32_e32 v10, v10, v9
	v_mov_b32_e32 v9, v139
	v_fmac_f32_e32 v9, 0xbf1a4643, v58
	v_mul_f32_e32 v140, 0x3dbcf732, v76
	v_add_f32_e32 v9, v9, v11
	v_mov_b32_e32 v11, v140
	v_mul_f32_e32 v141, 0xbf7ba420, v78
	v_fmac_f32_e32 v11, 0x3f7ee86f, v48
	v_mov_b32_e32 v12, v141
	v_add_f32_e32 v11, v1, v11
	v_fmac_f32_e32 v12, 0x3e3c28d5, v49
	v_mul_f32_e32 v142, 0xbe8c1d8e, v82
	v_add_f32_e32 v11, v12, v11
	v_mov_b32_e32 v12, v142
	v_fmac_f32_e32 v12, 0xbf763a35, v51
	v_mul_f32_e32 v143, 0x3f6eb680, v84
	v_add_f32_e32 v11, v12, v11
	v_mov_b32_e32 v12, v143
	v_fmac_f32_e32 v12, 0xbeb8f4ab, v53
	v_mul_f32_e32 v144, 0x3ee437d1, v90
	v_add_f32_e32 v11, v12, v11
	v_mov_b32_e32 v12, v144
	v_fmac_f32_e32 v12, 0x3f65296c, v55
	v_mul_f32_e32 v145, 0xbf59a7d5, v107
	v_add_f32_e32 v11, v12, v11
	v_mov_b32_e32 v12, v145
	v_fmac_f32_e32 v12, 0x3f06c442, v57
	v_mul_f32_e32 v146, 0xbf1a4643, v116
	v_add_f32_e32 v11, v12, v11
	v_mov_b32_e32 v12, v146
	v_fmac_f32_e32 v12, 0xbf4c4adb, v59
	v_mul_f32_e32 v147, 0xbf7ee86f, v67
	v_add_f32_e32 v11, v12, v11
	v_mov_b32_e32 v12, v147
	v_mul_f32_e32 v148, 0xbe3c28d5, v70
	v_fmac_f32_e32 v12, 0x3dbcf732, v45
	v_mov_b32_e32 v13, v148
	v_add_f32_e32 v12, v0, v12
	v_fmac_f32_e32 v13, 0xbf7ba420, v46
	v_mul_f32_e32 v149, 0x3f763a35, v73
	v_add_f32_e32 v12, v13, v12
	v_mov_b32_e32 v13, v149
	v_fmac_f32_e32 v13, 0xbe8c1d8e, v47
	v_mul_f32_e32 v150, 0x3eb8f4ab, v77
	v_add_f32_e32 v12, v13, v12
	v_mov_b32_e32 v13, v150
	v_fmac_f32_e32 v13, 0x3f6eb680, v50
	v_mul_f32_e32 v151, 0xbf65296c, v80
	v_add_f32_e32 v12, v13, v12
	v_mov_b32_e32 v13, v151
	v_fmac_f32_e32 v13, 0x3ee437d1, v52
	v_mul_f32_e32 v152, 0xbf06c442, v85
	v_add_f32_e32 v12, v13, v12
	v_mov_b32_e32 v13, v152
	v_fmac_f32_e32 v13, 0xbf59a7d5, v54
	v_mul_f32_e32 v153, 0x3f4c4adb, v92
	v_add_f32_e32 v12, v13, v12
	v_mov_b32_e32 v13, v153
	v_fmac_f32_e32 v13, 0xbf1a4643, v56
	v_mul_f32_e32 v154, 0x3f3d2fb0, v111
	v_add_f32_e32 v13, v13, v12
	v_mov_b32_e32 v12, v154
	;; [unrolled: 64-line block ×3, first 2 shown]
	v_fmac_f32_e32 v14, 0x3f06c442, v60
	v_mul_f32_e32 v171, 0xbf06c442, v101
	v_add_f32_e32 v14, v14, v13
	v_mov_b32_e32 v13, v171
	v_fmac_f32_e32 v13, 0xbf59a7d5, v58
	v_mul_f32_e32 v76, 0x3f3d2fb0, v76
	v_add_f32_e32 v13, v13, v15
	v_mov_b32_e32 v15, v76
	v_mul_f32_e32 v78, 0x3dbcf732, v78
	v_add_f32_e32 v4, v4, v40
	v_fmac_f32_e32 v15, 0x3f2c7751, v48
	v_mov_b32_e32 v40, v78
	v_add_f32_e32 v15, v1, v15
	v_fmac_f32_e32 v40, 0x3f7ee86f, v49
	v_mul_f32_e32 v82, 0xbf1a4643, v82
	v_add_f32_e32 v15, v40, v15
	v_mov_b32_e32 v40, v82
	v_fmac_f32_e32 v40, 0x3f4c4adb, v51
	v_mul_f32_e32 v84, 0xbf7ba420, v84
	v_add_f32_e32 v15, v40, v15
	v_mov_b32_e32 v40, v84
	;; [unrolled: 4-line block ×6, first 2 shown]
	v_mul_f32_e32 v70, 0xbf7ee86f, v70
	v_add_f32_e32 v5, v5, v41
	v_fmac_f32_e32 v40, 0x3f3d2fb0, v45
	v_mov_b32_e32 v41, v70
	v_add_f32_e32 v40, v0, v40
	v_fmac_f32_e32 v41, 0x3dbcf732, v46
	v_mul_f32_e32 v73, 0xbf4c4adb, v73
	v_add_f32_e32 v40, v41, v40
	v_mov_b32_e32 v41, v73
	v_fmac_f32_e32 v41, 0xbf1a4643, v47
	v_mul_f32_e32 v77, 0xbe3c28d5, v77
	v_add_f32_e32 v40, v41, v40
	v_mov_b32_e32 v41, v77
	;; [unrolled: 4-line block ×7, first 2 shown]
	v_fmac_f32_e32 v15, 0x3f6eb680, v58
	v_add_f32_e32 v40, v15, v40
	v_mul_f32_e32 v15, 0xbeb8f4ab, v48
	v_sub_f32_e32 v15, v64, v15
	v_mul_f32_e32 v64, 0xbf2c7751, v49
	v_sub_f32_e32 v64, v65, v64
	v_mul_f32_e32 v65, 0x3f6eb680, v45
	v_add_f32_e32 v61, v65, v61
	v_mul_f32_e32 v65, 0x3f3d2fb0, v46
	v_add_f32_e32 v15, v1, v15
	v_add_f32_e32 v62, v65, v62
	v_add_f32_e32 v61, v0, v61
	v_add_f32_e32 v15, v64, v15
	v_mul_f32_e32 v64, 0xbf65296c, v51
	v_add_f32_e32 v61, v62, v61
	v_mul_f32_e32 v62, 0x3ee437d1, v47
	v_sub_f32_e32 v64, v68, v64
	v_add_f32_e32 v62, v62, v63
	v_add_f32_e32 v15, v64, v15
	v_mul_f32_e32 v64, 0xbf7ee86f, v53
	v_add_f32_e32 v61, v62, v61
	v_mul_f32_e32 v62, 0x3dbcf732, v50
	v_sub_f32_e32 v64, v71, v64
	v_add_f32_e32 v62, v62, v66
	v_add_f32_e32 v15, v64, v15
	;; [unrolled: 6-line block ×5, first 2 shown]
	v_mul_f32_e32 v64, 0xbe3c28d5, v60
	v_add_f32_e32 v61, v62, v61
	v_mul_f32_e32 v62, 0xbf7ba420, v58
	v_sub_f32_e32 v64, v87, v64
	v_add_f32_e32 v63, v62, v81
	v_fmac_f32_e32 v88, 0xbe3c28d5, v48
	v_add_f32_e32 v62, v64, v15
	v_add_f32_e32 v61, v63, v61
	;; [unrolled: 1-line block ×3, first 2 shown]
	v_fmac_f32_e32 v89, 0x3eb8f4ab, v49
	v_fma_f32 v63, v45, s15, -v97
	v_add_f32_e32 v15, v89, v15
	v_fmac_f32_e32 v91, 0xbf06c442, v51
	v_add_f32_e32 v63, v0, v63
	v_fma_f32 v64, v46, s4, -v98
	v_add_f32_e32 v15, v91, v15
	v_fmac_f32_e32 v93, 0x3f2c7751, v53
	v_add_f32_e32 v63, v64, v63
	;; [unrolled: 4-line block ×5, first 2 shown]
	v_fma_f32 v64, v54, s6, -v103
	v_add_f32_e32 v15, v96, v15
	v_add_f32_e32 v63, v64, v63
	v_fma_f32 v64, v56, s10, -v104
	v_fmac_f32_e32 v86, 0x3f7ee86f, v60
	v_add_f32_e32 v63, v64, v63
	v_add_f32_e32 v64, v86, v15
	v_fma_f32 v15, v58, s7, -v105
	v_fmac_f32_e32 v106, 0xbf06c442, v48
	v_add_f32_e32 v63, v15, v63
	v_add_f32_e32 v15, v1, v106
	v_fmac_f32_e32 v108, 0x3f65296c, v49
	v_fma_f32 v65, v45, s14, -v115
	v_add_f32_e32 v15, v108, v15
	v_fmac_f32_e32 v109, 0xbf7ee86f, v51
	v_add_f32_e32 v65, v0, v65
	v_fma_f32 v17, v46, s6, -v17
	v_add_f32_e32 v15, v109, v15
	v_fmac_f32_e32 v110, 0x3f4c4adb, v53
	v_add_f32_e32 v17, v17, v65
	;; [unrolled: 4-line block ×5, first 2 shown]
	v_fma_f32 v18, v54, s15, -v21
	v_add_f32_e32 v15, v114, v15
	v_add_f32_e32 v17, v18, v17
	v_fma_f32 v18, v56, s5, -v22
	v_fmac_f32_e32 v16, 0xbf763a35, v60
	v_add_f32_e32 v17, v18, v17
	v_add_f32_e32 v16, v16, v15
	v_fma_f32 v15, v58, s10, -v23
	v_fmac_f32_e32 v24, 0xbf4c4adb, v48
	v_add_f32_e32 v15, v15, v17
	v_add_f32_e32 v17, v1, v24
	v_fmac_f32_e32 v25, 0x3f763a35, v49
	v_add_f32_e32 v17, v25, v17
	v_fmac_f32_e32 v26, 0xbeb8f4ab, v51
	v_fma_f32 v18, v45, s11, -v31
	v_add_f32_e32 v17, v26, v17
	v_fmac_f32_e32 v27, 0xbf06c442, v53
	v_add_f32_e32 v18, v0, v18
	v_fma_f32 v19, v46, s10, -v117
	v_add_f32_e32 v17, v27, v17
	v_fmac_f32_e32 v28, 0x3f7ee86f, v55
	v_add_f32_e32 v18, v19, v18
	;; [unrolled: 4-line block ×4, first 2 shown]
	v_fma_f32 v19, v52, s7, -v122
	v_add_f32_e32 v17, v30, v17
	v_add_f32_e32 v19, v19, v18
	v_fmac_f32_e32 v119, 0x3f65296c, v60
	v_fma_f32 v6, v54, s5, -v6
	v_add_f32_e32 v18, v119, v17
	v_add_f32_e32 v6, v6, v19
	v_fma_f32 v17, v56, s15, -v118
	v_add_f32_e32 v6, v17, v6
	v_fma_f32 v17, v58, s6, -v123
	v_fmac_f32_e32 v124, 0xbf763a35, v48
	v_add_f32_e32 v17, v17, v6
	v_add_f32_e32 v6, v1, v124
	v_fmac_f32_e32 v125, 0x3f06c442, v49
	v_add_f32_e32 v6, v125, v6
	v_fmac_f32_e32 v126, 0x3f2c7751, v51
	v_add_f32_e32 v6, v126, v6
	v_fmac_f32_e32 v127, 0xbf65296c, v53
	v_add_f32_e32 v6, v127, v6
	v_fmac_f32_e32 v128, 0xbe3c28d5, v55
	v_add_f32_e32 v6, v128, v6
	v_fmac_f32_e32 v129, 0x3f7ee86f, v57
	v_add_f32_e32 v6, v129, v6
	v_fmac_f32_e32 v130, 0xbeb8f4ab, v59
	v_add_f32_e32 v6, v130, v6
	v_fmac_f32_e32 v138, 0xbf4c4adb, v60
	v_add_f32_e32 v20, v138, v6
	v_fma_f32 v6, v45, s10, -v131
	v_add_f32_e32 v6, v0, v6
	v_fma_f32 v19, v46, s14, -v132
	v_add_f32_e32 v6, v19, v6
	v_fma_f32 v19, v47, s5, -v133
	v_add_f32_e32 v6, v19, v6
	v_fma_f32 v19, v50, s6, -v134
	v_add_f32_e32 v6, v19, v6
	v_fma_f32 v19, v52, s15, -v135
	v_add_f32_e32 v6, v19, v6
	v_fma_f32 v19, v54, s7, -v136
	v_add_f32_e32 v6, v19, v6
	v_fma_f32 v19, v56, s4, -v137
	v_add_f32_e32 v6, v19, v6
	v_fma_f32 v19, v58, s11, -v139
	v_fmac_f32_e32 v140, 0xbf7ee86f, v48
	v_add_f32_e32 v19, v19, v6
	v_add_f32_e32 v6, v1, v140
	v_fmac_f32_e32 v141, 0xbe3c28d5, v49
	v_add_f32_e32 v6, v141, v6
	v_fmac_f32_e32 v142, 0x3f763a35, v51
	v_add_f32_e32 v6, v142, v6
	v_fmac_f32_e32 v143, 0x3eb8f4ab, v53
	v_add_f32_e32 v6, v143, v6
	v_fmac_f32_e32 v144, 0xbf65296c, v55
	v_add_f32_e32 v6, v144, v6
	v_fmac_f32_e32 v145, 0xbf06c442, v57
	v_add_f32_e32 v6, v145, v6
	v_fmac_f32_e32 v146, 0x3f4c4adb, v59
	v_add_f32_e32 v6, v146, v6
	v_fmac_f32_e32 v154, 0x3f2c7751, v60
	v_add_f32_e32 v22, v154, v6
	v_fma_f32 v6, v45, s7, -v147
	v_add_f32_e32 v6, v0, v6
	v_fma_f32 v21, v46, s15, -v148
	v_add_f32_e32 v6, v21, v6
	v_fma_f32 v21, v47, s10, -v149
	v_add_f32_e32 v6, v21, v6
	v_fma_f32 v21, v50, s4, -v150
	v_add_f32_e32 v6, v21, v6
	v_fma_f32 v21, v52, s6, -v151
	v_add_f32_e32 v6, v21, v6
	v_fma_f32 v21, v54, s14, -v152
	;; [unrolled: 32-line block ×3, first 2 shown]
	v_add_f32_e32 v6, v23, v6
	v_fma_f32 v23, v56, s7, -v169
	v_add_f32_e32 v6, v23, v6
	v_fma_f32 v23, v58, s14, -v171
	;; [unrolled: 2-line block ×3, first 2 shown]
	v_fmac_f32_e32 v76, 0xbf2c7751, v48
	v_add_f32_e32 v0, v0, v6
	v_fma_f32 v6, v46, s7, -v70
	v_add_f32_e32 v1, v1, v76
	v_fmac_f32_e32 v78, 0xbf7ee86f, v49
	v_add_f32_e32 v0, v6, v0
	v_fma_f32 v6, v47, s11, -v73
	v_add_f32_e32 v1, v78, v1
	;; [unrolled: 4-line block ×7, first 2 shown]
	v_fmac_f32_e32 v111, 0x3eb8f4ab, v60
	v_add_f32_e32 v0, v6, v0
	v_lshl_add_u32 v6, v32, 7, v42
	v_add_f32_e32 v1, v111, v1
	ds_write2_b64 v6, v[4:5], v[61:62] offset1:1
	ds_write2_b64 v6, v[40:41], v[13:14] offset0:2 offset1:3
	ds_write2_b64 v6, v[11:12], v[9:10] offset0:4 offset1:5
	ds_write2_b64 v6, v[7:8], v[2:3] offset0:6 offset1:7
	ds_write2_b64 v6, v[38:39], v[63:64] offset0:8 offset1:9
	ds_write2_b64 v6, v[15:16], v[17:18] offset0:10 offset1:11
	ds_write2_b64 v6, v[19:20], v[21:22] offset0:12 offset1:13
	ds_write2_b64 v6, v[23:24], v[0:1] offset0:14 offset1:15
	ds_write_b64 v6, v[36:37] offset:128
.LBB0_13:
	s_or_b64 exec, exec, s[2:3]
	s_movk_i32 s2, 0xf1
	v_mul_lo_u16_sdwa v0, v32, s2 dst_sel:DWORD dst_unused:UNUSED_PAD src0_sel:BYTE_0 src1_sel:DWORD
	v_lshrrev_b16_e32 v69, 12, v0
	v_add_u16_e32 v50, 51, v32
	v_mul_lo_u16_e32 v0, 17, v69
	v_mul_lo_u16_sdwa v38, v50, s2 dst_sel:DWORD dst_unused:UNUSED_PAD src0_sel:BYTE_0 src1_sel:DWORD
	v_sub_u16_e32 v0, v32, v0
	v_mov_b32_e32 v49, 3
	v_lshrrev_b16_e32 v71, 12, v38
	v_add_u16_e32 v52, 0x66, v32
	v_lshlrev_b32_sdwa v70, v49, v0 dst_sel:DWORD dst_unused:UNUSED_PAD src0_sel:DWORD src1_sel:BYTE_0
	v_mul_lo_u16_e32 v0, 17, v71
	v_mul_lo_u16_sdwa v54, v52, s2 dst_sel:DWORD dst_unused:UNUSED_PAD src0_sel:BYTE_0 src1_sel:DWORD
	v_sub_u16_e32 v0, v50, v0
	v_lshrrev_b16_e32 v73, 12, v54
	v_add_u16_e32 v39, 0x99, v32
	v_lshlrev_b32_sdwa v72, v49, v0 dst_sel:DWORD dst_unused:UNUSED_PAD src0_sel:DWORD src1_sel:BYTE_0
	v_mul_lo_u16_e32 v0, 17, v73
	v_mul_lo_u16_sdwa v53, v39, s2 dst_sel:DWORD dst_unused:UNUSED_PAD src0_sel:BYTE_0 src1_sel:DWORD
	v_sub_u16_e32 v0, v52, v0
	;; [unrolled: 6-line block ×3, first 2 shown]
	v_lshrrev_b16_e32 v77, 12, v51
	v_lshlrev_b32_sdwa v76, v49, v0 dst_sel:DWORD dst_unused:UNUSED_PAD src0_sel:DWORD src1_sel:BYTE_0
	v_mul_lo_u16_e32 v0, 17, v77
	v_add_u32_e32 v46, 0xff, v32
	v_sub_u16_e32 v0, v48, v0
	s_mov_b32 s2, 0xf0f1
	v_lshlrev_b32_sdwa v78, v49, v0 dst_sel:DWORD dst_unused:UNUSED_PAD src0_sel:DWORD src1_sel:BYTE_0
	v_mul_u32_u24_sdwa v0, v46, s2 dst_sel:DWORD dst_unused:UNUSED_PAD src0_sel:WORD_0 src1_sel:DWORD
	v_lshrrev_b32_e32 v79, 20, v0
	v_mul_lo_u16_e32 v0, 17, v79
	v_add_u32_e32 v45, 0x132, v32
	v_sub_u16_e32 v0, v46, v0
	v_lshlrev_b32_e32 v80, 3, v0
	v_mul_u32_u24_sdwa v0, v45, s2 dst_sel:DWORD dst_unused:UNUSED_PAD src0_sel:WORD_0 src1_sel:DWORD
	v_lshrrev_b32_e32 v81, 20, v0
	v_mul_lo_u16_e32 v0, 17, v81
	v_add_u32_e32 v47, 0x165, v32
	v_sub_u16_e32 v0, v45, v0
	v_lshlrev_b32_e32 v82, 3, v0
	v_mul_u32_u24_sdwa v0, v47, s2 dst_sel:DWORD dst_unused:UNUSED_PAD src0_sel:WORD_0 src1_sel:DWORD
	v_lshrrev_b32_e32 v83, 20, v0
	v_mul_lo_u16_e32 v0, 17, v83
	s_waitcnt lgkmcnt(0)
	; wave barrier
	s_waitcnt lgkmcnt(0)
	global_load_dwordx2 v[40:41], v70, s[8:9]
	global_load_dwordx2 v[55:56], v72, s[8:9]
	;; [unrolled: 1-line block ×7, first 2 shown]
	v_sub_u16_e32 v0, v47, v0
	v_lshlrev_b32_e32 v84, 3, v0
	global_load_dwordx2 v[67:68], v84, s[8:9]
	ds_read2_b64 v[0:3], v42 offset1:51
	ds_read2_b64 v[4:7], v43 offset0:152 offset1:203
	ds_read2_b64 v[8:11], v42 offset0:102 offset1:153
	;; [unrolled: 1-line block ×7, first 2 shown]
	s_waitcnt lgkmcnt(0)
	; wave barrier
	s_waitcnt lgkmcnt(0)
	v_cmp_gt_u32_e32 vcc, 17, v32
	s_waitcnt vmcnt(7)
	v_mul_f32_e32 v44, v41, v5
	v_mul_f32_e32 v41, v41, v4
	v_fmac_f32_e32 v44, v40, v4
	v_fma_f32 v5, v40, v5, -v41
	s_waitcnt vmcnt(6)
	v_mul_f32_e32 v85, v56, v7
	s_waitcnt vmcnt(2)
	v_mul_f32_e32 v4, v22, v64
	v_mul_f32_e32 v40, v23, v64
	v_fma_f32 v23, v23, v63, -v4
	s_waitcnt vmcnt(1)
	v_mul_f32_e32 v41, v29, v66
	v_mul_f32_e32 v4, v28, v66
	;; [unrolled: 1-line block ×3, first 2 shown]
	v_fmac_f32_e32 v40, v22, v63
	v_fmac_f32_e32 v41, v28, v65
	v_fma_f32 v28, v29, v65, -v4
	s_waitcnt vmcnt(0)
	v_mul_f32_e32 v4, v30, v68
	v_fmac_f32_e32 v85, v55, v6
	v_fma_f32 v7, v55, v7, -v56
	v_fma_f32 v55, v31, v67, -v4
	v_sub_f32_e32 v4, v0, v44
	v_sub_f32_e32 v5, v1, v5
	;; [unrolled: 1-line block ×3, first 2 shown]
	v_mul_u32_u24_e32 v40, 0x110, v69
	v_fma_f32 v0, v0, 2.0, -v4
	v_fma_f32 v1, v1, 2.0, -v5
	v_add3_u32 v40, 0, v40, v70
	v_mul_f32_e32 v86, v58, v13
	v_mul_f32_e32 v58, v58, v12
	v_sub_f32_e32 v6, v2, v85
	v_sub_f32_e32 v7, v3, v7
	ds_write2_b64 v40, v[0:1], v[4:5] offset1:17
	v_mul_u32_u24_e32 v0, 0x110, v71
	v_fmac_f32_e32 v86, v57, v12
	v_fma_f32 v13, v57, v13, -v58
	v_fma_f32 v2, v2, 2.0, -v6
	v_fma_f32 v3, v3, 2.0, -v7
	v_add3_u32 v0, 0, v0, v72
	v_mul_f32_e32 v87, v60, v15
	v_mul_f32_e32 v60, v60, v14
	v_sub_f32_e32 v12, v8, v86
	v_sub_f32_e32 v13, v9, v13
	ds_write2_b64 v0, v[2:3], v[6:7] offset1:17
	v_mul_u32_u24_e32 v0, 0x110, v73
	v_fmac_f32_e32 v87, v59, v14
	v_fma_f32 v15, v59, v15, -v60
	;; [unrolled: 11-line block ×3, first 2 shown]
	v_fma_f32 v10, v10, 2.0, -v14
	v_fma_f32 v11, v11, 2.0, -v15
	v_add3_u32 v0, 0, v0, v76
	v_sub_f32_e32 v20, v16, v88
	v_sub_f32_e32 v21, v17, v21
	ds_write2_b64 v0, v[10:11], v[14:15] offset1:17
	v_mul_u32_u24_e32 v0, 0x110, v77
	v_fma_f32 v16, v16, 2.0, -v20
	v_fma_f32 v17, v17, 2.0, -v21
	v_add3_u32 v0, 0, v0, v78
	v_sub_f32_e32 v23, v19, v23
	ds_write2_b64 v0, v[16:17], v[20:21] offset1:17
	v_mul_u32_u24_e32 v0, 0x110, v79
	v_mul_f32_e32 v29, v31, v68
	v_fma_f32 v18, v18, 2.0, -v22
	v_fma_f32 v19, v19, 2.0, -v23
	v_add3_u32 v0, 0, v0, v80
	v_fmac_f32_e32 v29, v30, v67
	v_sub_f32_e32 v30, v24, v41
	v_sub_f32_e32 v31, v25, v28
	ds_write2_b64 v0, v[18:19], v[22:23] offset1:17
	v_mul_u32_u24_e32 v0, 0x110, v81
	v_fma_f32 v24, v24, 2.0, -v30
	v_fma_f32 v25, v25, 2.0, -v31
	v_add3_u32 v0, 0, v0, v82
	v_sub_f32_e32 v28, v26, v29
	v_sub_f32_e32 v29, v27, v55
	ds_write2_b64 v0, v[24:25], v[30:31] offset1:17
	v_mul_u32_u24_e32 v0, 0x110, v83
	v_fma_f32 v26, v26, 2.0, -v28
	v_fma_f32 v27, v27, 2.0, -v29
	v_add3_u32 v0, 0, v0, v84
	ds_write2_b64 v0, v[26:27], v[28:29] offset1:17
	v_add_u32_e32 v0, 0x400, v42
	s_waitcnt lgkmcnt(0)
	; wave barrier
	s_waitcnt lgkmcnt(0)
	ds_read2_b64 v[8:11], v42 offset1:51
	ds_read2_b64 v[0:3], v0 offset0:76 offset1:144
	ds_read2_b64 v[12:15], v33 offset0:32 offset1:83
	;; [unrolled: 1-line block ×6, first 2 shown]
	ds_read_b64 v[40:41], v42 offset:5984
                                        ; implicit-def: $vgpr31
	s_and_saveexec_b64 s[2:3], vcc
	s_cbranch_execz .LBB0_15
; %bb.14:
	ds_read_b64 v[28:29], v42 offset:2040
	ds_read_b64 v[36:37], v42 offset:4216
	;; [unrolled: 1-line block ×3, first 2 shown]
.LBB0_15:
	s_or_b64 exec, exec, s[2:3]
	v_lshrrev_b16_e32 v72, 13, v54
	v_lshrrev_b16_e32 v74, 13, v53
	v_mul_lo_u16_e32 v43, 34, v72
	v_mul_lo_u16_e32 v44, 34, v74
	v_mov_b32_e32 v33, 4
	v_sub_u16_e32 v73, v52, v43
	v_sub_u16_e32 v75, v39, v44
	v_lshlrev_b32_sdwa v43, v33, v73 dst_sel:DWORD dst_unused:UNUSED_PAD src0_sel:DWORD src1_sel:BYTE_0
	v_lshlrev_b32_sdwa v39, v33, v75 dst_sel:DWORD dst_unused:UNUSED_PAD src0_sel:DWORD src1_sel:BYTE_0
	v_lshrrev_b16_e32 v51, 13, v51
	global_load_dwordx4 v[52:55], v43, s[8:9] offset:136
	global_load_dwordx4 v[56:59], v39, s[8:9] offset:136
	v_mul_lo_u16_e32 v39, 34, v51
	v_sub_u16_e32 v76, v48, v39
	v_subrev_u32_e32 v43, 34, v32
	v_cmp_gt_u32_e64 s[2:3], 34, v32
	v_lshlrev_b32_sdwa v39, v33, v76 dst_sel:DWORD dst_unused:UNUSED_PAD src0_sel:DWORD src1_sel:BYTE_0
	v_cndmask_b32_e64 v78, v43, v32, s[2:3]
	global_load_dwordx4 v[60:63], v39, s[8:9] offset:136
	v_mov_b32_e32 v39, 0
	v_lshrrev_b16_e32 v77, 13, v38
	v_lshlrev_b32_e32 v38, 1, v78
	v_lshlrev_b64 v[43:44], 3, v[38:39]
	v_mov_b32_e32 v64, s9
	v_add_co_u32_e64 v43, s[2:3], s8, v43
	v_mul_lo_u16_e32 v38, 34, v77
	v_addc_co_u32_e64 v44, s[2:3], v64, v44, s[2:3]
	v_sub_u16_e32 v38, v50, v38
	global_load_dwordx4 v[64:67], v[43:44], off offset:136
	v_lshlrev_b32_sdwa v33, v33, v38 dst_sel:DWORD dst_unused:UNUSED_PAD src0_sel:DWORD src1_sel:BYTE_0
	global_load_dwordx4 v[68:71], v33, s[8:9] offset:136
	v_cmp_lt_u32_e64 s[2:3], 33, v32
	s_waitcnt lgkmcnt(0)
	; wave barrier
	s_waitcnt vmcnt(4) lgkmcnt(0)
	v_mul_f32_e32 v33, v53, v19
	v_mul_f32_e32 v44, v55, v21
	;; [unrolled: 1-line block ×4, first 2 shown]
	s_waitcnt vmcnt(3)
	v_mul_f32_e32 v53, v57, v25
	v_mul_f32_e32 v55, v57, v24
	;; [unrolled: 1-line block ×4, first 2 shown]
	s_waitcnt vmcnt(2)
	v_mul_f32_e32 v79, v27, v61
	v_fmac_f32_e32 v33, v52, v18
	v_fmac_f32_e32 v44, v54, v20
	v_mul_f32_e32 v61, v26, v61
	v_fma_f32 v43, v52, v19, -v43
	v_fma_f32 v21, v54, v21, -v50
	v_fmac_f32_e32 v57, v22, v58
	v_fma_f32 v50, v23, v58, -v59
	v_fmac_f32_e32 v79, v26, v60
	v_fmac_f32_e32 v53, v56, v24
	v_fma_f32 v52, v27, v60, -v61
	v_fma_f32 v25, v56, v25, -v55
	s_waitcnt vmcnt(1)
	v_mul_f32_e32 v18, v65, v3
	v_mul_f32_e32 v20, v67, v13
	;; [unrolled: 1-line block ×4, first 2 shown]
	s_waitcnt vmcnt(0)
	v_mul_f32_e32 v23, v69, v17
	v_mul_f32_e32 v26, v71, v15
	v_fmac_f32_e32 v18, v64, v2
	v_fmac_f32_e32 v20, v66, v12
	v_mul_f32_e32 v24, v69, v16
	v_fma_f32 v2, v64, v3, -v19
	v_fma_f32 v3, v66, v13, -v22
	v_fmac_f32_e32 v23, v68, v16
	v_fmac_f32_e32 v26, v70, v14
	v_add_f32_e32 v13, v18, v20
	v_mul_f32_e32 v27, v71, v14
	v_fma_f32 v17, v68, v17, -v24
	v_add_f32_e32 v12, v8, v18
	v_add_f32_e32 v14, v9, v2
	;; [unrolled: 1-line block ×3, first 2 shown]
	v_fma_f32 v8, -0.5, v13, v8
	v_fma_f32 v19, v70, v15, -v27
	v_sub_f32_e32 v16, v2, v3
	v_add_f32_e32 v15, v2, v3
	v_add_f32_e32 v22, v10, v23
	;; [unrolled: 1-line block ×3, first 2 shown]
	v_mov_b32_e32 v14, v8
	v_fma_f32 v10, -0.5, v24, v10
	v_fmac_f32_e32 v8, 0x3f5db3d7, v16
	v_fmac_f32_e32 v14, 0xbf5db3d7, v16
	v_sub_f32_e32 v13, v17, v19
	v_mov_b32_e32 v16, v10
	v_fma_f32 v9, -0.5, v15, v9
	v_fmac_f32_e32 v16, 0xbf5db3d7, v13
	v_fmac_f32_e32 v10, 0x3f5db3d7, v13
	v_add_f32_e32 v13, v11, v17
	v_add_f32_e32 v17, v17, v19
	v_sub_f32_e32 v18, v18, v20
	v_mov_b32_e32 v15, v9
	v_fmac_f32_e32 v11, -0.5, v17
	v_fmac_f32_e32 v9, 0xbf5db3d7, v18
	v_fmac_f32_e32 v15, 0x3f5db3d7, v18
	v_add_f32_e32 v13, v13, v19
	v_sub_f32_e32 v18, v23, v26
	v_mov_b32_e32 v17, v11
	v_add_f32_e32 v19, v33, v44
	v_fmac_f32_e32 v17, 0x3f5db3d7, v18
	v_fmac_f32_e32 v11, 0xbf5db3d7, v18
	v_add_f32_e32 v18, v4, v33
	v_fma_f32 v4, -0.5, v19, v4
	v_add_f32_e32 v2, v12, v20
	v_sub_f32_e32 v19, v43, v21
	v_mov_b32_e32 v20, v4
	v_fmac_f32_e32 v20, 0xbf5db3d7, v19
	v_fmac_f32_e32 v4, 0x3f5db3d7, v19
	v_add_f32_e32 v19, v5, v43
	v_add_f32_e32 v19, v19, v21
	;; [unrolled: 1-line block ×3, first 2 shown]
	v_fma_f32 v5, -0.5, v21, v5
	v_add_f32_e32 v12, v22, v26
	v_sub_f32_e32 v22, v33, v44
	v_mov_b32_e32 v21, v5
	v_add_f32_e32 v23, v53, v57
	v_fmac_f32_e32 v21, 0x3f5db3d7, v22
	v_fmac_f32_e32 v5, 0xbf5db3d7, v22
	v_add_f32_e32 v22, v6, v53
	v_fma_f32 v6, -0.5, v23, v6
	v_sub_f32_e32 v23, v25, v50
	v_mov_b32_e32 v24, v6
	v_mul_f32_e32 v80, v41, v63
	v_fmac_f32_e32 v24, 0xbf5db3d7, v23
	v_fmac_f32_e32 v6, 0x3f5db3d7, v23
	v_add_f32_e32 v23, v7, v25
	v_add_f32_e32 v25, v25, v50
	v_fmac_f32_e32 v80, v40, v62
	v_fmac_f32_e32 v7, -0.5, v25
	v_mul_f32_e32 v63, v40, v63
	v_sub_f32_e32 v26, v53, v57
	v_mov_b32_e32 v25, v7
	v_add_f32_e32 v27, v79, v80
	v_fma_f32 v41, v41, v62, -v63
	v_fmac_f32_e32 v25, 0x3f5db3d7, v26
	v_fmac_f32_e32 v7, 0xbf5db3d7, v26
	v_add_f32_e32 v26, v0, v79
	v_fma_f32 v0, -0.5, v27, v0
	v_sub_f32_e32 v27, v52, v41
	v_mov_b32_e32 v40, v0
	v_add_f32_e32 v33, v52, v41
	v_fmac_f32_e32 v40, 0xbf5db3d7, v27
	v_fmac_f32_e32 v0, 0x3f5db3d7, v27
	v_add_f32_e32 v27, v1, v52
	v_fmac_f32_e32 v1, -0.5, v33
	v_add_f32_e32 v27, v27, v41
	v_sub_f32_e32 v33, v79, v80
	v_mov_b32_e32 v41, v1
	v_fmac_f32_e32 v41, 0x3f5db3d7, v33
	v_fmac_f32_e32 v1, 0xbf5db3d7, v33
	v_mov_b32_e32 v33, 0x330
	v_cndmask_b32_e64 v33, 0, v33, s[2:3]
	v_lshlrev_b32_e32 v43, 3, v78
	v_add3_u32 v33, 0, v33, v43
	ds_write2_b64 v33, v[2:3], v[14:15] offset1:34
	ds_write_b64 v33, v[8:9] offset:544
	v_mul_u32_u24_e32 v2, 0x330, v77
	v_lshlrev_b32_sdwa v3, v49, v38 dst_sel:DWORD dst_unused:UNUSED_PAD src0_sel:DWORD src1_sel:BYTE_0
	v_add3_u32 v2, 0, v2, v3
	ds_write2_b64 v2, v[12:13], v[16:17] offset1:34
	ds_write_b64 v2, v[10:11] offset:544
	v_mul_u32_u24_e32 v2, 0x330, v72
	v_lshlrev_b32_sdwa v3, v49, v73 dst_sel:DWORD dst_unused:UNUSED_PAD src0_sel:DWORD src1_sel:BYTE_0
	v_add_f32_e32 v18, v18, v44
	v_add3_u32 v2, 0, v2, v3
	ds_write2_b64 v2, v[18:19], v[20:21] offset1:34
	ds_write_b64 v2, v[4:5] offset:544
	v_mul_u32_u24_e32 v2, 0x330, v74
	v_lshlrev_b32_sdwa v3, v49, v75 dst_sel:DWORD dst_unused:UNUSED_PAD src0_sel:DWORD src1_sel:BYTE_0
	v_add_f32_e32 v22, v22, v57
	v_add_f32_e32 v23, v23, v50
	v_add3_u32 v2, 0, v2, v3
	ds_write2_b64 v2, v[22:23], v[24:25] offset1:34
	ds_write_b64 v2, v[6:7] offset:544
	v_mul_u32_u24_e32 v2, 0x330, v51
	v_lshlrev_b32_sdwa v3, v49, v76 dst_sel:DWORD dst_unused:UNUSED_PAD src0_sel:DWORD src1_sel:BYTE_0
	v_add_f32_e32 v26, v26, v80
	v_add3_u32 v2, 0, v2, v3
	ds_write2_b64 v2, v[26:27], v[40:41] offset1:34
	ds_write_b64 v2, v[0:1] offset:544
	s_and_saveexec_b64 s[2:3], vcc
	s_cbranch_execz .LBB0_17
; %bb.16:
	s_mov_b32 s4, 0xf0f1
	v_mul_u32_u24_sdwa v0, v46, s4 dst_sel:DWORD dst_unused:UNUSED_PAD src0_sel:WORD_0 src1_sel:DWORD
	v_lshrrev_b32_e32 v0, 21, v0
	v_mul_lo_u16_e32 v0, 34, v0
	v_sub_u16_e32 v4, v46, v0
	v_lshlrev_b32_e32 v0, 4, v4
	global_load_dwordx4 v[0:3], v0, s[8:9] offset:136
	v_lshl_add_u32 v6, v4, 3, 0
	v_add_u32_e32 v7, 0x1000, v6
	s_waitcnt vmcnt(0)
	v_mul_f32_e32 v4, v36, v1
	v_mul_f32_e32 v5, v30, v3
	;; [unrolled: 1-line block ×4, first 2 shown]
	v_fma_f32 v3, v37, v0, -v4
	v_fma_f32 v4, v31, v2, -v5
	v_fmac_f32_e32 v1, v36, v0
	v_fmac_f32_e32 v8, v30, v2
	v_add_f32_e32 v0, v3, v4
	v_add_f32_e32 v5, v1, v8
	v_sub_f32_e32 v9, v1, v8
	v_add_f32_e32 v2, v29, v3
	v_sub_f32_e32 v10, v3, v4
	v_add_f32_e32 v11, v28, v1
	v_fma_f32 v1, -0.5, v0, v29
	v_fma_f32 v0, -0.5, v5, v28
	v_add_f32_e32 v3, v2, v4
	v_add_f32_e32 v2, v11, v8
	v_mov_b32_e32 v5, v1
	v_fmac_f32_e32 v1, 0x3f5db3d7, v9
	v_mov_b32_e32 v4, v0
	v_fmac_f32_e32 v0, 0xbf5db3d7, v10
	v_fmac_f32_e32 v5, 0xbf5db3d7, v9
	;; [unrolled: 1-line block ×3, first 2 shown]
	ds_write2_b64 v7, v[2:3], v[0:1] offset0:202 offset1:236
	ds_write_b64 v6, v[4:5] offset:6256
.LBB0_17:
	s_or_b64 exec, exec, s[2:3]
	v_mov_b32_e32 v33, v39
	v_lshlrev_b64 v[0:1], 3, v[32:33]
	v_mov_b32_e32 v2, s9
	v_add_co_u32_e32 v30, vcc, s8, v0
	s_movk_i32 s2, 0xa1
	v_addc_co_u32_e32 v31, vcc, v2, v1, vcc
	v_mul_lo_u16_sdwa v2, v48, s2 dst_sel:DWORD dst_unused:UNUSED_PAD src0_sel:BYTE_0 src1_sel:DWORD
	v_lshrrev_b16_e32 v2, 14, v2
	v_mul_lo_u16_e32 v2, 0x66, v2
	v_sub_u16_e32 v2, v48, v2
	v_mov_b32_e32 v3, 3
	s_mov_b32 s2, 0xa0a1
	v_lshlrev_b32_sdwa v33, v3, v2 dst_sel:DWORD dst_unused:UNUSED_PAD src0_sel:DWORD src1_sel:BYTE_0
	v_mul_u32_u24_sdwa v2, v46, s2 dst_sel:DWORD dst_unused:UNUSED_PAD src0_sel:WORD_0 src1_sel:DWORD
	v_lshrrev_b32_e32 v2, 22, v2
	v_mul_lo_u16_e32 v2, 0x66, v2
	v_sub_u16_e32 v2, v46, v2
	v_lshlrev_b32_e32 v54, 3, v2
	v_mul_u32_u24_sdwa v2, v45, s2 dst_sel:DWORD dst_unused:UNUSED_PAD src0_sel:WORD_0 src1_sel:DWORD
	s_waitcnt lgkmcnt(0)
	; wave barrier
	s_waitcnt lgkmcnt(0)
	global_load_dwordx2 v[40:41], v[30:31], off offset:680
	global_load_dwordx2 v[43:44], v[30:31], off offset:1088
	v_lshrrev_b32_e32 v2, 22, v2
	v_mul_lo_u16_e32 v2, 0x66, v2
	global_load_dwordx2 v[48:49], v33, s[8:9] offset:680
	global_load_dwordx2 v[50:51], v54, s[8:9] offset:680
	v_sub_u16_e32 v2, v45, v2
	v_lshlrev_b32_e32 v55, 3, v2
	v_mul_u32_u24_sdwa v2, v47, s2 dst_sel:DWORD dst_unused:UNUSED_PAD src0_sel:WORD_0 src1_sel:DWORD
	v_lshrrev_b32_e32 v2, 22, v2
	v_mul_lo_u16_e32 v2, 0x66, v2
	v_sub_u16_e32 v2, v47, v2
	global_load_dwordx2 v[45:46], v55, s[8:9] offset:680
	v_lshlrev_b32_e32 v47, 3, v2
	global_load_dwordx2 v[52:53], v47, s[8:9] offset:680
	ds_read2_b64 v[2:5], v42 offset1:51
	v_add_u32_e32 v56, 0x800, v42
	ds_read2_b64 v[6:9], v42 offset0:102 offset1:153
	v_add_u32_e32 v57, 0xc00, v42
	ds_read2_b64 v[10:13], v42 offset0:204 offset1:255
	;; [unrolled: 2-line block ×3, first 2 shown]
	ds_read2_b64 v[18:21], v57 offset0:126 offset1:177
	ds_read2_b64 v[22:25], v58 offset0:100 offset1:151
	ds_read2_b64 v[26:29], v56 offset0:50 offset1:101
	ds_read2_b64 v[36:39], v58 offset0:202 offset1:253
	s_waitcnt lgkmcnt(0)
	; wave barrier
	s_waitcnt lgkmcnt(0)
	s_movk_i32 s2, 0x1000
	s_add_u32 s4, s8, 0x18f8
	s_addc_u32 s5, s9, 0
	s_waitcnt vmcnt(5)
	v_mul_f32_e32 v59, v41, v15
	v_mul_f32_e32 v60, v41, v14
	s_waitcnt vmcnt(4)
	v_mul_f32_e32 v61, v44, v17
	v_mul_f32_e32 v62, v44, v16
	;; [unrolled: 1-line block ×6, first 2 shown]
	v_fmac_f32_e32 v59, v40, v14
	v_fma_f32 v15, v40, v15, -v60
	v_fmac_f32_e32 v61, v43, v16
	v_fma_f32 v17, v43, v17, -v62
	;; [unrolled: 2-line block ×4, first 2 shown]
	s_waitcnt vmcnt(3)
	v_mul_f32_e32 v40, v23, v49
	v_mul_f32_e32 v18, v22, v49
	s_waitcnt vmcnt(2)
	v_mul_f32_e32 v20, v24, v51
	v_sub_f32_e32 v14, v2, v59
	v_sub_f32_e32 v15, v3, v15
	;; [unrolled: 1-line block ×4, first 2 shown]
	v_mul_f32_e32 v41, v25, v51
	v_fmac_f32_e32 v40, v22, v48
	v_fma_f32 v23, v23, v48, -v18
	v_fma_f32 v25, v25, v50, -v20
	v_fma_f32 v2, v2, 2.0, -v14
	v_fma_f32 v3, v3, 2.0, -v15
	;; [unrolled: 1-line block ×4, first 2 shown]
	v_sub_f32_e32 v18, v6, v63
	v_sub_f32_e32 v19, v7, v19
	;; [unrolled: 1-line block ×4, first 2 shown]
	v_fma_f32 v6, v6, 2.0, -v18
	v_fma_f32 v7, v7, 2.0, -v19
	;; [unrolled: 1-line block ×4, first 2 shown]
	v_sub_f32_e32 v22, v10, v40
	v_sub_f32_e32 v23, v11, v23
	ds_write2_b64 v42, v[2:3], v[4:5] offset1:51
	ds_write2_b64 v42, v[14:15], v[16:17] offset0:102 offset1:153
	ds_write2_b64 v42, v[6:7], v[8:9] offset0:204 offset1:255
	;; [unrolled: 1-line block ×3, first 2 shown]
	v_add_u32_e32 v2, 0, v33
	v_fmac_f32_e32 v41, v24, v50
	v_fma_f32 v10, v10, 2.0, -v22
	v_fma_f32 v11, v11, 2.0, -v23
	v_add_u32_e32 v2, 0x800, v2
	s_waitcnt vmcnt(1)
	v_mul_f32_e32 v43, v37, v46
	v_mul_f32_e32 v44, v36, v46
	v_sub_f32_e32 v24, v12, v41
	v_sub_f32_e32 v25, v13, v25
	ds_write2_b64 v2, v[10:11], v[22:23] offset0:152 offset1:254
	v_add_u32_e32 v2, 0, v54
	v_fmac_f32_e32 v43, v36, v45
	v_fma_f32 v37, v37, v45, -v44
	v_fma_f32 v12, v12, 2.0, -v24
	v_fma_f32 v13, v13, 2.0, -v25
	v_add_u32_e32 v2, 0x800, v2
	s_waitcnt vmcnt(0)
	v_mul_f32_e32 v46, v39, v53
	v_mul_f32_e32 v49, v38, v53
	v_sub_f32_e32 v36, v26, v43
	v_sub_f32_e32 v37, v27, v37
	ds_write2_b64 v2, v[12:13], v[24:25] offset0:152 offset1:254
	v_add_u32_e32 v2, 0, v55
	v_fmac_f32_e32 v46, v38, v52
	v_fma_f32 v39, v39, v52, -v49
	v_fma_f32 v26, v26, 2.0, -v36
	v_fma_f32 v27, v27, 2.0, -v37
	v_add_u32_e32 v2, 0x1000, v2
	v_sub_f32_e32 v38, v28, v46
	v_sub_f32_e32 v39, v29, v39
	ds_write2_b64 v2, v[26:27], v[36:37] offset0:100 offset1:202
	v_add_u32_e32 v2, 0, v47
	v_fma_f32 v28, v28, 2.0, -v38
	v_fma_f32 v29, v29, 2.0, -v39
	v_add_u32_e32 v2, 0x1000, v2
	ds_write2_b64 v2, v[28:29], v[38:39] offset0:100 offset1:202
	s_waitcnt lgkmcnt(0)
	; wave barrier
	s_waitcnt lgkmcnt(0)
	global_load_dwordx2 v[40:41], v[30:31], off offset:1496
	global_load_dwordx2 v[43:44], v[30:31], off offset:1904
	;; [unrolled: 1-line block ×4, first 2 shown]
	ds_read2_b64 v[2:5], v42 offset1:51
	ds_read2_b64 v[6:9], v56 offset0:152 offset1:203
	ds_read2_b64 v[10:13], v42 offset0:102 offset1:153
	;; [unrolled: 1-line block ×7, first 2 shown]
	s_waitcnt lgkmcnt(0)
	; wave barrier
	s_waitcnt vmcnt(3) lgkmcnt(0)
	v_mul_f32_e32 v33, v41, v7
	v_mul_f32_e32 v49, v41, v6
	s_waitcnt vmcnt(2)
	v_mul_f32_e32 v50, v44, v9
	v_mul_f32_e32 v51, v44, v8
	;; [unrolled: 1-line block ×4, first 2 shown]
	v_fmac_f32_e32 v33, v40, v6
	s_waitcnt vmcnt(1)
	v_mul_f32_e32 v6, v36, v46
	v_mul_f32_e32 v52, v46, v15
	;; [unrolled: 1-line block ×3, first 2 shown]
	s_waitcnt vmcnt(0)
	v_mul_f32_e32 v54, v48, v17
	v_mul_f32_e32 v55, v48, v16
	;; [unrolled: 1-line block ×5, first 2 shown]
	v_fma_f32 v7, v40, v7, -v49
	v_fmac_f32_e32 v50, v43, v8
	v_fma_f32 v9, v43, v9, -v51
	v_fmac_f32_e32 v59, v22, v40
	v_fma_f32 v23, v23, v40, -v41
	v_fma_f32 v37, v37, v45, -v6
	v_mul_f32_e32 v40, v39, v48
	v_mul_f32_e32 v6, v38, v48
	v_fmac_f32_e32 v52, v45, v14
	v_fma_f32 v15, v45, v15, -v53
	v_fmac_f32_e32 v54, v47, v16
	v_fma_f32 v17, v47, v17, -v55
	;; [unrolled: 2-line block ×3, first 2 shown]
	v_fmac_f32_e32 v61, v36, v45
	v_fmac_f32_e32 v40, v38, v47
	v_fma_f32 v39, v39, v47, -v6
	v_sub_f32_e32 v6, v2, v33
	v_sub_f32_e32 v7, v3, v7
	;; [unrolled: 1-line block ×4, first 2 shown]
	v_fma_f32 v2, v2, 2.0, -v6
	v_fma_f32 v3, v3, 2.0, -v7
	;; [unrolled: 1-line block ×4, first 2 shown]
	v_sub_f32_e32 v14, v10, v52
	v_sub_f32_e32 v15, v11, v15
	;; [unrolled: 1-line block ×12, first 2 shown]
	v_fma_f32 v10, v10, 2.0, -v14
	v_fma_f32 v11, v11, 2.0, -v15
	;; [unrolled: 1-line block ×12, first 2 shown]
	ds_write2_b64 v42, v[2:3], v[4:5] offset1:51
	ds_write2_b64 v42, v[6:7], v[8:9] offset0:204 offset1:255
	ds_write2_b64 v42, v[10:11], v[12:13] offset0:102 offset1:153
	;; [unrolled: 1-line block ×7, first 2 shown]
	s_waitcnt lgkmcnt(0)
	; wave barrier
	s_waitcnt lgkmcnt(0)
	global_load_dwordx2 v[40:41], v[30:31], off offset:3128
	global_load_dwordx2 v[43:44], v[30:31], off offset:3536
	;; [unrolled: 1-line block ×3, first 2 shown]
	v_add_co_u32_e32 v2, vcc, s2, v30
	v_addc_co_u32_e32 v3, vcc, 0, v31, vcc
	global_load_dwordx2 v[30:31], v[2:3], off offset:256
	global_load_dwordx2 v[47:48], v[2:3], off offset:664
	;; [unrolled: 1-line block ×5, first 2 shown]
	ds_read2_b64 v[2:5], v42 offset1:51
	ds_read2_b64 v[6:9], v56 offset0:152 offset1:203
	ds_read2_b64 v[10:13], v42 offset0:102 offset1:153
	ds_read2_b64 v[14:17], v57 offset0:126 offset1:177
	ds_read2_b64 v[18:21], v42 offset0:204 offset1:255
	ds_read2_b64 v[22:25], v58 offset0:100 offset1:151
	ds_read2_b64 v[26:29], v56 offset0:50 offset1:101
	ds_read2_b64 v[36:39], v58 offset0:202 offset1:253
	s_waitcnt lgkmcnt(0)
	; wave barrier
	s_waitcnt lgkmcnt(0)
	v_cmp_ne_u32_e32 vcc, 0, v32
	s_waitcnt vmcnt(7)
	v_mul_f32_e32 v33, v41, v7
	v_mul_f32_e32 v41, v41, v6
	v_fmac_f32_e32 v33, v40, v6
	s_waitcnt vmcnt(4)
	v_mul_f32_e32 v6, v31, v16
	v_mul_f32_e32 v60, v31, v17
	v_fma_f32 v17, v30, v17, -v6
	s_waitcnt vmcnt(3)
	v_mul_f32_e32 v6, v22, v48
	v_fmac_f32_e32 v60, v30, v16
	v_mul_f32_e32 v30, v23, v48
	v_fma_f32 v23, v23, v47, -v6
	s_waitcnt vmcnt(2)
	v_mul_f32_e32 v6, v24, v50
	v_mul_f32_e32 v55, v44, v9
	;; [unrolled: 1-line block ×3, first 2 shown]
	v_fma_f32 v7, v40, v7, -v41
	v_mul_f32_e32 v31, v25, v50
	v_fma_f32 v25, v25, v49, -v6
	s_waitcnt vmcnt(1)
	v_mul_f32_e32 v40, v37, v52
	v_mul_f32_e32 v6, v36, v52
	;; [unrolled: 1-line block ×4, first 2 shown]
	v_fmac_f32_e32 v55, v43, v8
	v_fma_f32 v9, v43, v9, -v44
	v_fmac_f32_e32 v40, v36, v51
	v_fma_f32 v36, v37, v51, -v6
	s_waitcnt vmcnt(0)
	v_mul_f32_e32 v37, v39, v54
	v_mul_f32_e32 v6, v38, v54
	v_fmac_f32_e32 v59, v45, v14
	v_fma_f32 v15, v45, v15, -v46
	v_fmac_f32_e32 v30, v22, v47
	v_fmac_f32_e32 v31, v24, v49
	;; [unrolled: 1-line block ×3, first 2 shown]
	v_fma_f32 v38, v39, v53, -v6
	v_sub_f32_e32 v6, v2, v33
	v_sub_f32_e32 v7, v3, v7
	v_sub_f32_e32 v8, v4, v55
	v_sub_f32_e32 v9, v5, v9
	v_fma_f32 v2, v2, 2.0, -v6
	v_fma_f32 v3, v3, 2.0, -v7
	;; [unrolled: 1-line block ×4, first 2 shown]
	v_sub_f32_e32 v14, v10, v59
	v_sub_f32_e32 v15, v11, v15
	v_sub_f32_e32 v16, v12, v60
	v_sub_f32_e32 v17, v13, v17
	v_sub_f32_e32 v22, v18, v30
	v_sub_f32_e32 v23, v19, v23
	v_sub_f32_e32 v24, v20, v31
	v_sub_f32_e32 v25, v21, v25
	v_sub_f32_e32 v30, v26, v40
	v_sub_f32_e32 v31, v27, v36
	v_sub_f32_e32 v36, v28, v37
	v_sub_f32_e32 v37, v29, v38
	v_fma_f32 v10, v10, 2.0, -v14
	v_fma_f32 v11, v11, 2.0, -v15
	;; [unrolled: 1-line block ×12, first 2 shown]
	ds_write2_b64 v42, v[2:3], v[4:5] offset1:51
	ds_write2_b64 v56, v[6:7], v[8:9] offset0:152 offset1:203
	ds_write2_b64 v42, v[10:11], v[12:13] offset0:102 offset1:153
	;; [unrolled: 1-line block ×7, first 2 shown]
	s_waitcnt lgkmcnt(0)
	; wave barrier
	s_waitcnt lgkmcnt(0)
	ds_read_b64 v[4:5], v42
	v_lshlrev_b32_e32 v2, 3, v32
	v_sub_u32_e32 v6, 0, v2
                                        ; implicit-def: $vgpr2
                                        ; implicit-def: $vgpr7
                                        ; implicit-def: $vgpr8
	s_and_saveexec_b64 s[2:3], vcc
	s_xor_b64 s[2:3], exec, s[2:3]
	s_cbranch_execz .LBB0_19
; %bb.18:
	v_mov_b32_e32 v3, s5
	v_add_co_u32_e32 v2, vcc, s4, v0
	v_addc_co_u32_e32 v3, vcc, v3, v1, vcc
	global_load_dwordx2 v[9:10], v[2:3], off
	ds_read_b64 v[2:3], v6 offset:6528
	s_waitcnt lgkmcnt(0)
	v_add_f32_e32 v11, v2, v4
	v_sub_f32_e32 v2, v4, v2
	v_add_f32_e32 v7, v3, v5
	v_sub_f32_e32 v3, v5, v3
	v_mul_f32_e32 v5, 0.5, v2
	v_mul_f32_e32 v4, 0.5, v7
	;; [unrolled: 1-line block ×3, first 2 shown]
	s_waitcnt vmcnt(0)
	v_mul_f32_e32 v3, v10, v5
	v_fma_f32 v8, v4, v10, v2
	v_fma_f32 v10, v4, v10, -v2
	v_fma_f32 v7, 0.5, v11, v3
	v_fma_f32 v2, v11, 0.5, -v3
	v_fma_f32 v8, -v9, v5, v8
	v_fmac_f32_e32 v7, v9, v4
	v_fma_f32 v2, -v9, v4, v2
	v_fma_f32 v3, -v9, v5, v10
                                        ; implicit-def: $vgpr4_vgpr5
.LBB0_19:
	s_andn2_saveexec_b64 s[2:3], s[2:3]
	s_cbranch_execz .LBB0_21
; %bb.20:
	v_mov_b32_e32 v8, 0
	ds_read_b32 v3, v8 offset:3268
	s_waitcnt lgkmcnt(1)
	v_add_f32_e32 v7, v4, v5
	v_sub_f32_e32 v2, v4, v5
	s_waitcnt lgkmcnt(0)
	v_xor_b32_e32 v3, 0x80000000, v3
	ds_write_b32 v8, v3 offset:3268
	v_mov_b32_e32 v3, 0
.LBB0_21:
	s_or_b64 exec, exec, s[2:3]
	s_waitcnt lgkmcnt(0)
	v_mov_b32_e32 v5, s5
	v_add_co_u32_e32 v4, vcc, s4, v0
	v_addc_co_u32_e32 v5, vcc, v5, v1, vcc
	global_load_dwordx2 v[9:10], v[4:5], off offset:408
	global_load_dwordx2 v[11:12], v[4:5], off offset:816
	;; [unrolled: 1-line block ×3, first 2 shown]
	ds_write2_b32 v42, v7, v8 offset1:1
	ds_write_b64 v6, v[2:3] offset:6528
	ds_read_b64 v[2:3], v42 offset:408
	ds_read_b64 v[7:8], v6 offset:6120
	global_load_dwordx2 v[15:16], v[4:5], off offset:1632
	s_waitcnt lgkmcnt(0)
	v_add_f32_e32 v17, v2, v7
	v_sub_f32_e32 v2, v2, v7
	v_add_f32_e32 v18, v3, v8
	v_sub_f32_e32 v3, v3, v8
	v_mul_f32_e32 v2, 0.5, v2
	v_mul_f32_e32 v7, 0.5, v18
	;; [unrolled: 1-line block ×3, first 2 shown]
	s_waitcnt vmcnt(3)
	v_mul_f32_e32 v8, v10, v2
	v_fma_f32 v18, v7, v10, v3
	v_fma_f32 v3, v7, v10, -v3
	v_fma_f32 v10, 0.5, v17, v8
	v_fma_f32 v18, -v9, v2, v18
	v_fma_f32 v8, v17, 0.5, -v8
	v_fmac_f32_e32 v10, v9, v7
	v_fma_f32 v3, -v9, v2, v3
	v_fma_f32 v2, -v9, v7, v8
	ds_write2_b32 v42, v10, v18 offset0:102 offset1:103
	ds_write_b64 v6, v[2:3] offset:6120
	ds_read_b64 v[2:3], v42 offset:816
	ds_read_b64 v[7:8], v6 offset:5712
	global_load_dwordx2 v[9:10], v[4:5], off offset:2040
	s_waitcnt lgkmcnt(0)
	v_add_f32_e32 v17, v2, v7
	v_sub_f32_e32 v2, v2, v7
	v_add_f32_e32 v18, v3, v8
	v_sub_f32_e32 v3, v3, v8
	v_mul_f32_e32 v2, 0.5, v2
	v_mul_f32_e32 v7, 0.5, v18
	;; [unrolled: 1-line block ×3, first 2 shown]
	s_waitcnt vmcnt(3)
	v_mul_f32_e32 v8, v12, v2
	v_fma_f32 v18, v7, v12, v3
	v_fma_f32 v3, v7, v12, -v3
	v_fma_f32 v12, 0.5, v17, v8
	v_fma_f32 v18, -v11, v2, v18
	v_fma_f32 v8, v17, 0.5, -v8
	v_fmac_f32_e32 v12, v11, v7
	v_fma_f32 v3, -v11, v2, v3
	v_fma_f32 v2, -v11, v7, v8
	ds_write2_b32 v42, v12, v18 offset0:204 offset1:205
	ds_write_b64 v6, v[2:3] offset:5712
	ds_read_b64 v[2:3], v42 offset:1224
	ds_read_b64 v[7:8], v6 offset:5304
	global_load_dwordx2 v[11:12], v[4:5], off offset:2448
	v_add_u32_e32 v17, 0x400, v42
	s_waitcnt lgkmcnt(0)
	v_add_f32_e32 v18, v2, v7
	v_sub_f32_e32 v2, v2, v7
	v_add_f32_e32 v19, v3, v8
	v_sub_f32_e32 v3, v3, v8
	v_mul_f32_e32 v2, 0.5, v2
	v_mul_f32_e32 v7, 0.5, v19
	;; [unrolled: 1-line block ×3, first 2 shown]
	s_waitcnt vmcnt(3)
	v_mul_f32_e32 v8, v14, v2
	v_fma_f32 v19, v7, v14, v3
	v_fma_f32 v3, v7, v14, -v3
	v_fma_f32 v14, 0.5, v18, v8
	v_fma_f32 v19, -v13, v2, v19
	v_fma_f32 v8, v18, 0.5, -v8
	v_fmac_f32_e32 v14, v13, v7
	v_fma_f32 v3, -v13, v2, v3
	v_fma_f32 v2, -v13, v7, v8
	ds_write2_b32 v17, v14, v19 offset0:50 offset1:51
	ds_write_b64 v6, v[2:3] offset:5304
	ds_read_b64 v[2:3], v42 offset:1632
	ds_read_b64 v[7:8], v6 offset:4896
	global_load_dwordx2 v[4:5], v[4:5], off offset:2856
	s_waitcnt lgkmcnt(0)
	v_add_f32_e32 v13, v2, v7
	v_sub_f32_e32 v2, v2, v7
	v_add_f32_e32 v14, v3, v8
	v_sub_f32_e32 v3, v3, v8
	v_mul_f32_e32 v2, 0.5, v2
	v_mul_f32_e32 v7, 0.5, v14
	;; [unrolled: 1-line block ×3, first 2 shown]
	s_waitcnt vmcnt(3)
	v_mul_f32_e32 v8, v16, v2
	v_fma_f32 v14, v7, v16, v3
	v_fma_f32 v3, v7, v16, -v3
	v_fma_f32 v16, 0.5, v13, v8
	v_fma_f32 v14, -v15, v2, v14
	v_fma_f32 v8, v13, 0.5, -v8
	v_fmac_f32_e32 v16, v15, v7
	v_fma_f32 v3, -v15, v2, v3
	v_fma_f32 v2, -v15, v7, v8
	ds_write2_b32 v17, v16, v14 offset0:152 offset1:153
	ds_write_b64 v6, v[2:3] offset:4896
	ds_read_b64 v[2:3], v42 offset:2040
	ds_read_b64 v[7:8], v6 offset:4488
	s_waitcnt lgkmcnt(0)
	v_add_f32_e32 v13, v2, v7
	v_sub_f32_e32 v2, v2, v7
	v_add_f32_e32 v14, v3, v8
	v_sub_f32_e32 v3, v3, v8
	v_mul_f32_e32 v2, 0.5, v2
	v_mul_f32_e32 v7, 0.5, v14
	;; [unrolled: 1-line block ×3, first 2 shown]
	s_waitcnt vmcnt(2)
	v_mul_f32_e32 v8, v10, v2
	v_fma_f32 v14, v7, v10, v3
	v_fma_f32 v3, v7, v10, -v3
	v_fma_f32 v10, 0.5, v13, v8
	v_fma_f32 v14, -v9, v2, v14
	v_fma_f32 v8, v13, 0.5, -v8
	v_fmac_f32_e32 v10, v9, v7
	v_fma_f32 v3, -v9, v2, v3
	v_fma_f32 v2, -v9, v7, v8
	ds_write2_b32 v17, v10, v14 offset0:254 offset1:255
	ds_write_b64 v6, v[2:3] offset:4488
	ds_read_b64 v[7:8], v42 offset:2448
	ds_read_b64 v[9:10], v6 offset:4080
	v_add_u32_e32 v2, 0x800, v42
	s_waitcnt lgkmcnt(0)
	v_add_f32_e32 v3, v7, v9
	v_sub_f32_e32 v7, v7, v9
	v_add_f32_e32 v13, v8, v10
	v_sub_f32_e32 v8, v8, v10
	v_mul_f32_e32 v7, 0.5, v7
	v_mul_f32_e32 v9, 0.5, v13
	;; [unrolled: 1-line block ×3, first 2 shown]
	s_waitcnt vmcnt(1)
	v_mul_f32_e32 v10, v12, v7
	v_fma_f32 v13, v9, v12, v8
	v_fma_f32 v8, v9, v12, -v8
	v_fma_f32 v12, 0.5, v3, v10
	v_fma_f32 v13, -v11, v7, v13
	v_fma_f32 v3, v3, 0.5, -v10
	v_fmac_f32_e32 v12, v11, v9
	v_fma_f32 v8, -v11, v7, v8
	v_fma_f32 v7, -v11, v9, v3
	ds_write2_b32 v2, v12, v13 offset0:100 offset1:101
	ds_write_b64 v6, v[7:8] offset:4080
	ds_read_b64 v[7:8], v42 offset:2856
	ds_read_b64 v[9:10], v6 offset:3672
	s_waitcnt lgkmcnt(0)
	v_add_f32_e32 v3, v7, v9
	v_sub_f32_e32 v7, v7, v9
	v_add_f32_e32 v11, v8, v10
	v_sub_f32_e32 v8, v8, v10
	v_mul_f32_e32 v7, 0.5, v7
	v_mul_f32_e32 v9, 0.5, v11
	;; [unrolled: 1-line block ×3, first 2 shown]
	s_waitcnt vmcnt(0)
	v_mul_f32_e32 v10, v5, v7
	v_fma_f32 v11, v9, v5, v8
	v_fma_f32 v12, 0.5, v3, v10
	v_fma_f32 v11, -v4, v7, v11
	v_fma_f32 v3, v3, 0.5, -v10
	v_fmac_f32_e32 v12, v4, v9
	v_fma_f32 v5, v9, v5, -v8
	v_fma_f32 v3, -v4, v9, v3
	v_fma_f32 v4, -v4, v7, v5
	ds_write2_b32 v2, v12, v11 offset0:202 offset1:203
	ds_write_b64 v6, v[3:4] offset:3672
	s_waitcnt lgkmcnt(0)
	; wave barrier
	s_waitcnt lgkmcnt(0)
	s_and_saveexec_b64 s[2:3], s[0:1]
	s_cbranch_execz .LBB0_24
; %bb.22:
	ds_read2_b64 v[5:8], v42 offset1:51
	v_mov_b32_e32 v3, s13
	v_add_co_u32_e32 v4, vcc, s12, v34
	v_addc_co_u32_e32 v3, vcc, v3, v35, vcc
	ds_read2_b64 v[9:12], v42 offset0:102 offset1:153
	v_add_co_u32_e32 v0, vcc, v4, v0
	v_addc_co_u32_e32 v1, vcc, v3, v1, vcc
	ds_read2_b64 v[13:16], v42 offset0:204 offset1:255
	s_waitcnt lgkmcnt(2)
	global_store_dwordx2 v[0:1], v[5:6], off
	global_store_dwordx2 v[0:1], v[7:8], off offset:408
	s_waitcnt lgkmcnt(1)
	global_store_dwordx2 v[0:1], v[9:10], off offset:816
	global_store_dwordx2 v[0:1], v[11:12], off offset:1224
	s_waitcnt lgkmcnt(0)
	global_store_dwordx2 v[0:1], v[13:14], off offset:1632
	ds_read2_b64 v[5:8], v2 offset0:50 offset1:101
	ds_read2_b64 v[9:12], v2 offset0:152 offset1:203
	v_add_u32_e32 v2, 0xc00, v42
	global_store_dwordx2 v[0:1], v[15:16], off offset:2040
	ds_read2_b64 v[13:16], v2 offset0:126 offset1:177
	s_waitcnt lgkmcnt(2)
	global_store_dwordx2 v[0:1], v[5:6], off offset:2448
	global_store_dwordx2 v[0:1], v[7:8], off offset:2856
	s_waitcnt lgkmcnt(1)
	global_store_dwordx2 v[0:1], v[9:10], off offset:3264
	global_store_dwordx2 v[0:1], v[11:12], off offset:3672
	s_waitcnt lgkmcnt(0)
	global_store_dwordx2 v[0:1], v[13:14], off offset:4080
	v_add_u32_e32 v2, 0x1000, v42
	ds_read2_b64 v[5:8], v2 offset0:100 offset1:151
	ds_read2_b64 v[9:12], v2 offset0:202 offset1:253
	s_movk_i32 s0, 0x1000
	v_add_co_u32_e32 v0, vcc, s0, v0
	v_addc_co_u32_e32 v1, vcc, 0, v1, vcc
	v_cmp_eq_u32_e32 vcc, 50, v32
	global_store_dwordx2 v[0:1], v[15:16], off offset:392
	s_waitcnt lgkmcnt(1)
	global_store_dwordx2 v[0:1], v[5:6], off offset:800
	global_store_dwordx2 v[0:1], v[7:8], off offset:1208
	s_waitcnt lgkmcnt(0)
	global_store_dwordx2 v[0:1], v[9:10], off offset:1616
	global_store_dwordx2 v[0:1], v[11:12], off offset:2024
	s_and_b64 exec, exec, vcc
	s_cbranch_execz .LBB0_24
; %bb.23:
	v_mov_b32_e32 v0, 0
	ds_read_b64 v[0:1], v0 offset:6528
	v_add_co_u32_e32 v2, vcc, 0x1000, v4
	v_addc_co_u32_e32 v3, vcc, 0, v3, vcc
	s_waitcnt lgkmcnt(0)
	global_store_dwordx2 v[2:3], v[0:1], off offset:2432
.LBB0_24:
	s_endpgm
	.section	.rodata,"a",@progbits
	.p2align	6, 0x0
	.amdhsa_kernel fft_rtc_back_len816_factors_17_2_3_2_2_2_wgs_51_tpt_51_halfLds_sp_ip_CI_unitstride_sbrr_R2C_dirReg
		.amdhsa_group_segment_fixed_size 0
		.amdhsa_private_segment_fixed_size 0
		.amdhsa_kernarg_size 88
		.amdhsa_user_sgpr_count 6
		.amdhsa_user_sgpr_private_segment_buffer 1
		.amdhsa_user_sgpr_dispatch_ptr 0
		.amdhsa_user_sgpr_queue_ptr 0
		.amdhsa_user_sgpr_kernarg_segment_ptr 1
		.amdhsa_user_sgpr_dispatch_id 0
		.amdhsa_user_sgpr_flat_scratch_init 0
		.amdhsa_user_sgpr_private_segment_size 0
		.amdhsa_uses_dynamic_stack 0
		.amdhsa_system_sgpr_private_segment_wavefront_offset 0
		.amdhsa_system_sgpr_workgroup_id_x 1
		.amdhsa_system_sgpr_workgroup_id_y 0
		.amdhsa_system_sgpr_workgroup_id_z 0
		.amdhsa_system_sgpr_workgroup_info 0
		.amdhsa_system_vgpr_workitem_id 0
		.amdhsa_next_free_vgpr 172
		.amdhsa_next_free_sgpr 22
		.amdhsa_reserve_vcc 1
		.amdhsa_reserve_flat_scratch 0
		.amdhsa_float_round_mode_32 0
		.amdhsa_float_round_mode_16_64 0
		.amdhsa_float_denorm_mode_32 3
		.amdhsa_float_denorm_mode_16_64 3
		.amdhsa_dx10_clamp 1
		.amdhsa_ieee_mode 1
		.amdhsa_fp16_overflow 0
		.amdhsa_exception_fp_ieee_invalid_op 0
		.amdhsa_exception_fp_denorm_src 0
		.amdhsa_exception_fp_ieee_div_zero 0
		.amdhsa_exception_fp_ieee_overflow 0
		.amdhsa_exception_fp_ieee_underflow 0
		.amdhsa_exception_fp_ieee_inexact 0
		.amdhsa_exception_int_div_zero 0
	.end_amdhsa_kernel
	.text
.Lfunc_end0:
	.size	fft_rtc_back_len816_factors_17_2_3_2_2_2_wgs_51_tpt_51_halfLds_sp_ip_CI_unitstride_sbrr_R2C_dirReg, .Lfunc_end0-fft_rtc_back_len816_factors_17_2_3_2_2_2_wgs_51_tpt_51_halfLds_sp_ip_CI_unitstride_sbrr_R2C_dirReg
                                        ; -- End function
	.section	.AMDGPU.csdata,"",@progbits
; Kernel info:
; codeLenInByte = 12520
; NumSgprs: 26
; NumVgprs: 172
; ScratchSize: 0
; MemoryBound: 0
; FloatMode: 240
; IeeeMode: 1
; LDSByteSize: 0 bytes/workgroup (compile time only)
; SGPRBlocks: 3
; VGPRBlocks: 42
; NumSGPRsForWavesPerEU: 26
; NumVGPRsForWavesPerEU: 172
; Occupancy: 1
; WaveLimiterHint : 1
; COMPUTE_PGM_RSRC2:SCRATCH_EN: 0
; COMPUTE_PGM_RSRC2:USER_SGPR: 6
; COMPUTE_PGM_RSRC2:TRAP_HANDLER: 0
; COMPUTE_PGM_RSRC2:TGID_X_EN: 1
; COMPUTE_PGM_RSRC2:TGID_Y_EN: 0
; COMPUTE_PGM_RSRC2:TGID_Z_EN: 0
; COMPUTE_PGM_RSRC2:TIDIG_COMP_CNT: 0
	.type	__hip_cuid_7ef19628ffc24f,@object ; @__hip_cuid_7ef19628ffc24f
	.section	.bss,"aw",@nobits
	.globl	__hip_cuid_7ef19628ffc24f
__hip_cuid_7ef19628ffc24f:
	.byte	0                               ; 0x0
	.size	__hip_cuid_7ef19628ffc24f, 1

	.ident	"AMD clang version 19.0.0git (https://github.com/RadeonOpenCompute/llvm-project roc-6.4.0 25133 c7fe45cf4b819c5991fe208aaa96edf142730f1d)"
	.section	".note.GNU-stack","",@progbits
	.addrsig
	.addrsig_sym __hip_cuid_7ef19628ffc24f
	.amdgpu_metadata
---
amdhsa.kernels:
  - .args:
      - .actual_access:  read_only
        .address_space:  global
        .offset:         0
        .size:           8
        .value_kind:     global_buffer
      - .offset:         8
        .size:           8
        .value_kind:     by_value
      - .actual_access:  read_only
        .address_space:  global
        .offset:         16
        .size:           8
        .value_kind:     global_buffer
      - .actual_access:  read_only
        .address_space:  global
        .offset:         24
        .size:           8
        .value_kind:     global_buffer
      - .offset:         32
        .size:           8
        .value_kind:     by_value
      - .actual_access:  read_only
        .address_space:  global
        .offset:         40
        .size:           8
        .value_kind:     global_buffer
      - .actual_access:  read_only
        .address_space:  global
        .offset:         48
        .size:           8
        .value_kind:     global_buffer
      - .offset:         56
        .size:           4
        .value_kind:     by_value
      - .actual_access:  read_only
        .address_space:  global
        .offset:         64
        .size:           8
        .value_kind:     global_buffer
      - .actual_access:  read_only
        .address_space:  global
        .offset:         72
        .size:           8
        .value_kind:     global_buffer
      - .address_space:  global
        .offset:         80
        .size:           8
        .value_kind:     global_buffer
    .group_segment_fixed_size: 0
    .kernarg_segment_align: 8
    .kernarg_segment_size: 88
    .language:       OpenCL C
    .language_version:
      - 2
      - 0
    .max_flat_workgroup_size: 51
    .name:           fft_rtc_back_len816_factors_17_2_3_2_2_2_wgs_51_tpt_51_halfLds_sp_ip_CI_unitstride_sbrr_R2C_dirReg
    .private_segment_fixed_size: 0
    .sgpr_count:     26
    .sgpr_spill_count: 0
    .symbol:         fft_rtc_back_len816_factors_17_2_3_2_2_2_wgs_51_tpt_51_halfLds_sp_ip_CI_unitstride_sbrr_R2C_dirReg.kd
    .uniform_work_group_size: 1
    .uses_dynamic_stack: false
    .vgpr_count:     172
    .vgpr_spill_count: 0
    .wavefront_size: 64
amdhsa.target:   amdgcn-amd-amdhsa--gfx906
amdhsa.version:
  - 1
  - 2
...

	.end_amdgpu_metadata
